;; amdgpu-corpus repo=ROCm/rocFFT kind=compiled arch=gfx1030 opt=O3
	.text
	.amdgcn_target "amdgcn-amd-amdhsa--gfx1030"
	.amdhsa_code_object_version 6
	.protected	bluestein_single_fwd_len340_dim1_sp_op_CI_CI ; -- Begin function bluestein_single_fwd_len340_dim1_sp_op_CI_CI
	.globl	bluestein_single_fwd_len340_dim1_sp_op_CI_CI
	.p2align	8
	.type	bluestein_single_fwd_len340_dim1_sp_op_CI_CI,@function
bluestein_single_fwd_len340_dim1_sp_op_CI_CI: ; @bluestein_single_fwd_len340_dim1_sp_op_CI_CI
; %bb.0:
	s_load_dwordx4 s[0:3], s[4:5], 0x28
	v_mul_u32_u24_e32 v1, 0x788, v0
	v_lshrrev_b32_e32 v1, 16, v1
	v_mad_u64_u32 v[40:41], null, s6, 3, v[1:2]
	v_mov_b32_e32 v41, 0
                                        ; kill: def $vgpr2 killed $sgpr0 killed $exec
	s_waitcnt lgkmcnt(0)
	v_cmp_gt_u64_e32 vcc_lo, s[0:1], v[40:41]
	s_and_saveexec_b32 s0, vcc_lo
	s_cbranch_execz .LBB0_15
; %bb.1:
	v_mul_hi_u32 v2, 0xaaaaaaab, v40
	v_mul_lo_u16 v1, v1, 34
	s_clause 0x1
	s_load_dwordx2 s[12:13], s[4:5], 0x0
	s_load_dwordx2 s[14:15], s[4:5], 0x38
	v_sub_nc_u16 v0, v0, v1
	v_lshrrev_b32_e32 v2, 1, v2
	v_and_b32_e32 v80, 0xffff, v0
	v_cmp_gt_u16_e32 vcc_lo, 20, v0
	v_lshl_add_u32 v2, v2, 1, v2
	v_lshlrev_b32_e32 v78, 3, v80
	v_or_b32_e32 v79, 0xa0, v80
	v_sub_nc_u32_e32 v1, v40, v2
	v_or_b32_e32 v77, 0x140, v80
	v_mul_u32_u24_e32 v38, 0x154, v1
	v_lshlrev_b32_e32 v81, 3, v38
	s_and_saveexec_b32 s1, vcc_lo
	s_cbranch_execz .LBB0_3
; %bb.2:
	s_load_dwordx2 s[6:7], s[4:5], 0x18
	s_waitcnt lgkmcnt(0)
	global_load_dwordx2 v[2:3], v78, s[12:13] offset:1280
	v_lshlrev_b32_e32 v16, 3, v77
	s_load_dwordx4 s[8:11], s[6:7], 0x0
	s_clause 0x4
	global_load_dwordx2 v[8:9], v78, s[12:13]
	global_load_dwordx2 v[10:11], v78, s[12:13] offset:160
	global_load_dwordx2 v[12:13], v78, s[12:13] offset:320
	;; [unrolled: 1-line block ×3, first 2 shown]
	global_load_dwordx2 v[16:17], v16, s[12:13]
	s_waitcnt lgkmcnt(0)
	v_mad_u64_u32 v[0:1], null, s10, v40, 0
	v_mad_u64_u32 v[4:5], null, s8, v80, 0
	;; [unrolled: 1-line block ×3, first 2 shown]
	s_mul_i32 s0, s9, 0xa0
	s_mul_hi_u32 s6, s8, 0xa0
	s_mul_i32 s7, s8, 0xa0
	s_add_i32 s6, s6, s0
	v_mad_u64_u32 v[21:22], null, s9, v80, v[5:6]
	v_mov_b32_e32 v5, v21
	v_lshlrev_b64 v[4:5], 3, v[4:5]
	s_waitcnt vmcnt(5)
	v_mad_u64_u32 v[18:19], null, s11, v40, v[1:2]
	v_mad_u64_u32 v[19:20], null, s8, v77, 0
	v_mov_b32_e32 v1, v18
	v_lshlrev_b64 v[0:1], 3, v[0:1]
	s_waitcnt vmcnt(4)
	v_mad_u64_u32 v[22:23], null, s9, v79, v[7:8]
	v_mov_b32_e32 v7, v20
	v_add_co_u32 v24, s0, s2, v0
	v_add_co_ci_u32_e64 v25, s0, s3, v1, s0
	v_mad_u64_u32 v[20:21], null, s9, v77, v[7:8]
	v_mov_b32_e32 v7, v22
	v_add_co_u32 v0, s0, v24, v4
	v_add_co_ci_u32_e64 v1, s0, v25, v5, s0
	v_lshlrev_b64 v[4:5], 3, v[6:7]
	v_add_co_u32 v6, s0, v0, s7
	v_add_co_ci_u32_e64 v7, s0, s6, v1, s0
	v_lshlrev_b64 v[18:19], 3, v[19:20]
	v_add_co_u32 v20, s0, v6, s7
	v_add_co_ci_u32_e64 v21, s0, s6, v7, s0
	v_add_co_u32 v4, s0, v24, v4
	v_add_co_ci_u32_e64 v5, s0, v25, v5, s0
	v_add_co_u32 v22, s0, v20, s7
	v_add_co_ci_u32_e64 v23, s0, s6, v21, s0
	v_add_co_u32 v18, s0, v24, v18
	v_add_co_ci_u32_e64 v19, s0, v25, v19, s0
	v_add_co_u32 v24, s0, v22, s7
	v_add_co_ci_u32_e64 v25, s0, s6, v23, s0
	s_clause 0x3
	global_load_dwordx2 v[0:1], v[0:1], off
	global_load_dwordx2 v[4:5], v[4:5], off
	;; [unrolled: 1-line block ×4, first 2 shown]
	s_clause 0x3
	global_load_dwordx2 v[34:35], v78, s[12:13] offset:640
	global_load_dwordx2 v[36:37], v78, s[12:13] offset:800
	;; [unrolled: 1-line block ×4, first 2 shown]
	s_clause 0x1
	global_load_dwordx2 v[20:21], v[20:21], off
	global_load_dwordx2 v[22:23], v[22:23], off
	v_add_co_u32 v26, s0, v24, s7
	v_add_co_ci_u32_e64 v27, s0, s6, v25, s0
	global_load_dwordx2 v[24:25], v[24:25], off
	v_add_co_u32 v28, s0, v26, s7
	v_add_co_ci_u32_e64 v29, s0, s6, v27, s0
	v_add_co_u32 v30, s0, v28, s7
	v_add_co_ci_u32_e64 v31, s0, s6, v29, s0
	v_add_co_u32 v39, s0, s12, v78
	v_add_co_ci_u32_e64 v46, null, s13, 0, s0
	v_mad_u64_u32 v[32:33], null, 0x140, s8, v[30:31]
	v_add_co_u32 v45, s0, 0x800, v39
	v_add_co_ci_u32_e64 v46, s0, 0, v46, s0
	v_lshl_add_u32 v39, v80, 3, v81
	v_add_co_u32 v58, s0, v32, s7
	s_waitcnt vmcnt(6)
	v_mad_u64_u32 v[47:48], null, 0x140, s9, v[33:34]
	s_clause 0x2
	global_load_dwordx2 v[48:49], v78, s[12:13] offset:1440
	global_load_dwordx2 v[50:51], v78, s[12:13] offset:1600
	;; [unrolled: 1-line block ×3, first 2 shown]
	global_load_dwordx2 v[26:27], v[26:27], off
	s_clause 0x1
	global_load_dwordx2 v[54:55], v78, s[12:13] offset:1920
	global_load_dwordx2 v[56:57], v[45:46], off offset:32
	global_load_dwordx2 v[28:29], v[28:29], off
	global_load_dwordx2 v[30:31], v[30:31], off
	v_mul_f32_e32 v73, v0, v9
	v_mul_f32_e32 v72, v1, v9
	;; [unrolled: 1-line block ×4, first 2 shown]
	v_mov_b32_e32 v33, v47
	v_fma_f32 v73, v1, v8, -v73
	v_fmac_f32_e32 v72, v0, v8
	v_fmac_f32_e32 v74, v4, v2
	v_fma_f32 v75, v5, v2, -v9
	v_add_co_ci_u32_e64 v59, s0, s6, v33, s0
	v_add_co_u32 v60, s0, v58, s7
	global_load_dwordx2 v[32:33], v[32:33], off
	v_add_co_ci_u32_e64 v61, s0, s6, v59, s0
	v_add_co_u32 v62, s0, v60, s7
	global_load_dwordx2 v[58:59], v[58:59], off
	v_add_co_ci_u32_e64 v63, s0, s6, v61, s0
	v_add_co_u32 v64, s0, v62, s7
	global_load_dwordx2 v[60:61], v[60:61], off
	v_add_co_ci_u32_e64 v65, s0, s6, v63, s0
	v_add_co_u32 v66, s0, v64, s7
	global_load_dwordx2 v[62:63], v[62:63], off
	v_add_co_ci_u32_e64 v67, s0, s6, v65, s0
	v_add_co_u32 v68, s0, v66, s7
	global_load_dwordx2 v[64:65], v[64:65], off
	v_add_co_ci_u32_e64 v69, s0, s6, v67, s0
	global_load_dwordx2 v[66:67], v[66:67], off
	s_clause 0x1
	global_load_dwordx2 v[70:71], v[45:46], off offset:192
	global_load_dwordx2 v[45:46], v[45:46], off offset:352
	global_load_dwordx2 v[68:69], v[68:69], off
	s_waitcnt vmcnt(19)
	v_mul_f32_e32 v2, v20, v13
	v_mul_f32_e32 v1, v6, v11
	;; [unrolled: 1-line block ×4, first 2 shown]
	s_waitcnt vmcnt(17)
	v_mul_f32_e32 v8, v25, v35
	v_fma_f32 v5, v21, v12, -v2
	v_mul_f32_e32 v2, v24, v35
	v_fma_f32 v1, v7, v10, -v1
	v_fmac_f32_e32 v0, v6, v10
	v_mul_f32_e32 v7, v22, v15
	v_mul_f32_e32 v6, v23, v15
	v_fma_f32 v9, v25, v34, -v2
	v_add_nc_u32_e32 v47, v81, v78
	v_fmac_f32_e32 v4, v20, v12
	v_fma_f32 v7, v23, v14, -v7
	v_fmac_f32_e32 v6, v22, v14
	v_fmac_f32_e32 v8, v24, v34
	ds_write_b64 v39, v[72:73]
	ds_write2_b64 v47, v[0:1], v[4:5] offset0:20 offset1:40
	ds_write2_b64 v47, v[6:7], v[8:9] offset0:60 offset1:80
	v_mul_f32_e32 v3, v19, v17
	v_mul_f32_e32 v82, v18, v17
	v_add_nc_u32_e32 v76, 0x800, v47
	v_fmac_f32_e32 v3, v18, v16
	s_waitcnt vmcnt(13)
	v_mul_f32_e32 v2, v26, v37
	v_mul_f32_e32 v10, v27, v37
	s_waitcnt vmcnt(10)
	v_mul_f32_e32 v13, v28, v42
	v_mul_f32_e32 v12, v29, v42
	v_fma_f32 v11, v27, v36, -v2
	s_waitcnt vmcnt(9)
	v_mul_f32_e32 v2, v30, v44
	v_mul_f32_e32 v14, v31, v44
	v_fmac_f32_e32 v10, v26, v36
	v_fma_f32 v13, v29, v41, -v13
	v_fmac_f32_e32 v12, v28, v41
	v_fma_f32 v15, v31, v43, -v2
	v_fmac_f32_e32 v14, v30, v43
	ds_write2_b64 v47, v[10:11], v[12:13] offset0:100 offset1:120
	ds_write2_b64 v47, v[14:15], v[74:75] offset0:140 offset1:160
	s_waitcnt vmcnt(8)
	v_mul_f32_e32 v0, v33, v49
	v_mul_f32_e32 v1, v32, v49
	s_waitcnt vmcnt(7)
	v_mul_f32_e32 v2, v58, v51
	v_mul_f32_e32 v5, v59, v51
	v_fmac_f32_e32 v0, v32, v48
	v_fma_f32 v1, v33, v48, -v1
	v_fma_f32 v6, v59, v50, -v2
	s_waitcnt vmcnt(6)
	v_mul_f32_e32 v2, v60, v53
	v_mul_f32_e32 v7, v61, v53
	v_fmac_f32_e32 v5, v58, v50
	s_waitcnt vmcnt(5)
	v_mul_f32_e32 v4, v62, v55
	v_mul_f32_e32 v9, v63, v55
	v_fma_f32 v8, v61, v52, -v2
	v_fmac_f32_e32 v7, v60, v52
	s_waitcnt vmcnt(4)
	v_mul_f32_e32 v11, v65, v57
	v_fma_f32 v10, v63, v54, -v4
	v_mul_f32_e32 v2, v64, v57
	s_waitcnt vmcnt(2)
	v_mul_f32_e32 v13, v67, v71
	v_mul_f32_e32 v4, v66, v71
	s_waitcnt vmcnt(0)
	v_mul_f32_e32 v17, v69, v46
	v_mul_f32_e32 v15, v68, v46
	v_fmac_f32_e32 v9, v62, v54
	v_fmac_f32_e32 v11, v64, v56
	v_fma_f32 v12, v65, v56, -v2
	v_fmac_f32_e32 v13, v66, v70
	v_fma_f32 v14, v67, v70, -v4
	;; [unrolled: 2-line block ×3, first 2 shown]
	v_fma_f32 v4, v19, v16, -v82
	ds_write2_b64 v47, v[0:1], v[5:6] offset0:180 offset1:200
	ds_write2_b64 v47, v[7:8], v[9:10] offset0:220 offset1:240
	;; [unrolled: 1-line block ×4, first 2 shown]
.LBB0_3:
	s_or_b32 exec_lo, exec_lo, s1
	s_clause 0x1
	s_load_dwordx2 s[0:1], s[4:5], 0x20
	s_load_dwordx2 s[2:3], s[4:5], 0x8
	v_mov_b32_e32 v4, 0
	v_mov_b32_e32 v5, 0
	s_waitcnt lgkmcnt(0)
	s_barrier
	buffer_gl0_inv
                                        ; implicit-def: $vgpr22
                                        ; implicit-def: $vgpr16
                                        ; implicit-def: $vgpr12
                                        ; implicit-def: $vgpr8
                                        ; implicit-def: $vgpr36
                                        ; implicit-def: $vgpr34
                                        ; implicit-def: $vgpr26
                                        ; implicit-def: $vgpr30
	s_and_saveexec_b32 s4, vcc_lo
	s_cbranch_execz .LBB0_5
; %bb.4:
	v_lshl_add_u32 v0, v38, 3, v78
	ds_read2_b64 v[4:7], v0 offset1:20
	ds_read2_b64 v[28:31], v0 offset0:40 offset1:60
	ds_read2_b64 v[24:27], v0 offset0:80 offset1:100
	v_add_nc_u32_e32 v1, 0x400, v0
	v_add_nc_u32_e32 v2, 0x800, v0
	ds_read2_b64 v[32:35], v0 offset0:120 offset1:140
	ds_read2_b64 v[20:23], v0 offset0:160 offset1:180
	;; [unrolled: 1-line block ×5, first 2 shown]
	ds_read_b64 v[36:37], v0 offset:2560
.LBB0_5:
	s_or_b32 exec_lo, exec_lo, s4
	s_waitcnt lgkmcnt(0)
	v_sub_f32_e32 v73, v7, v37
	v_add_f32_e32 v71, v36, v6
	v_sub_f32_e32 v76, v6, v36
	v_sub_f32_e32 v83, v29, v11
	v_add_f32_e32 v74, v37, v7
	v_mul_f32_e32 v86, 0xbeb8f4ab, v73
	v_add_f32_e32 v39, v10, v28
	v_sub_f32_e32 v85, v28, v10
	v_mul_f32_e32 v89, 0xbeb8f4ab, v76
	v_mul_f32_e32 v55, 0xbf2c7751, v83
	v_fmamk_f32 v0, v71, 0x3f6eb680, v86
	v_sub_f32_e32 v88, v31, v9
	v_add_f32_e32 v51, v11, v29
	v_mul_f32_e32 v56, 0xbf2c7751, v85
	v_fma_f32 v1, 0x3f6eb680, v74, -v89
	v_fmamk_f32 v2, v39, 0x3f3d2fb0, v55
	v_add_f32_e32 v0, v0, v4
	v_sub_f32_e32 v90, v30, v8
	v_add_f32_e32 v52, v8, v30
	v_mul_f32_e32 v60, 0xbf65296c, v88
	v_sub_f32_e32 v104, v25, v15
	v_fma_f32 v3, 0x3f3d2fb0, v51, -v56
	v_add_f32_e32 v1, v1, v5
	v_add_f32_e32 v0, v2, v0
	;; [unrolled: 1-line block ×3, first 2 shown]
	v_mul_f32_e32 v64, 0xbf65296c, v90
	v_fmamk_f32 v2, v52, 0x3ee437d1, v60
	v_add_f32_e32 v54, v14, v24
	v_mul_f32_e32 v63, 0xbf7ee86f, v104
	v_sub_f32_e32 v106, v24, v14
	v_sub_f32_e32 v110, v27, v13
	v_add_f32_e32 v1, v3, v1
	v_fma_f32 v3, 0x3ee437d1, v53, -v64
	v_add_f32_e32 v0, v2, v0
	v_fmamk_f32 v2, v54, 0x3dbcf732, v63
	v_add_f32_e32 v58, v15, v25
	v_mul_f32_e32 v68, 0xbf7ee86f, v106
	v_add_f32_e32 v57, v12, v26
	v_mul_f32_e32 v67, 0xbf763a35, v110
	v_sub_f32_e32 v111, v26, v12
	v_add_f32_e32 v1, v3, v1
	v_fma_f32 v3, 0x3dbcf732, v58, -v68
	v_add_f32_e32 v0, v2, v0
	v_fmamk_f32 v2, v57, 0xbe8c1d8e, v67
	v_add_f32_e32 v59, v13, v27
	v_mul_f32_e32 v69, 0xbf763a35, v111
	v_sub_f32_e32 v112, v33, v19
	v_add_f32_e32 v1, v3, v1
	v_add_f32_e32 v0, v2, v0
	v_sub_f32_e32 v113, v32, v18
	v_fma_f32 v2, 0xbe8c1d8e, v59, -v69
	v_add_f32_e32 v61, v18, v32
	v_mul_f32_e32 v75, 0xbf4c4adb, v112
	v_sub_f32_e32 v114, v35, v17
	v_add_f32_e32 v62, v19, v33
	v_mul_f32_e32 v84, 0xbf4c4adb, v113
	v_add_f32_e32 v1, v2, v1
	v_fmamk_f32 v2, v61, 0xbf1a4643, v75
	v_sub_f32_e32 v118, v34, v16
	v_add_f32_e32 v65, v16, v34
	v_mul_f32_e32 v87, 0xbf06c442, v114
	v_fma_f32 v3, 0xbf1a4643, v62, -v84
	v_add_f32_e32 v66, v17, v35
	v_mul_f32_e32 v91, 0xbf06c442, v118
	v_add_f32_e32 v0, v2, v0
	v_fmamk_f32 v2, v65, 0xbf59a7d5, v87
	v_mul_f32_e32 v146, 0xbf2c7751, v73
	v_add_f32_e32 v1, v3, v1
	v_fma_f32 v3, 0xbf59a7d5, v66, -v91
	v_mul_f32_e32 v92, 0xbf7ee86f, v83
	v_add_f32_e32 v0, v2, v0
	v_fmamk_f32 v2, v71, 0x3f3d2fb0, v146
	v_mul_f32_e32 v147, 0xbf2c7751, v76
	v_add_f32_e32 v1, v3, v1
	v_fmamk_f32 v3, v39, 0x3dbcf732, v92
	v_mul_f32_e32 v96, 0xbf7ee86f, v85
	v_add_f32_e32 v2, v2, v4
	v_fma_f32 v41, 0x3f3d2fb0, v74, -v147
	v_mul_f32_e32 v93, 0xbf4c4adb, v88
	v_mul_f32_e32 v99, 0xbf4c4adb, v90
	v_mul_f32_e32 v94, 0xbe3c28d5, v104
	v_add_f32_e32 v2, v3, v2
	v_add_f32_e32 v3, v41, v5
	v_fma_f32 v41, 0x3dbcf732, v51, -v96
	v_fmamk_f32 v42, v52, 0xbf1a4643, v93
	v_sub_f32_e32 v141, v21, v23
	v_mul_f32_e32 v100, 0xbe3c28d5, v106
	v_mul_f32_e32 v95, 0x3f06c442, v110
	v_add_f32_e32 v3, v41, v3
	v_add_f32_e32 v2, v42, v2
	v_fma_f32 v41, 0xbf1a4643, v53, -v99
	v_fmamk_f32 v42, v54, 0xbf7ba420, v94
	v_sub_f32_e32 v142, v20, v22
	v_add_f32_e32 v70, v22, v20
	v_mul_f32_e32 v107, 0xbe3c28d5, v141
	v_add_f32_e32 v3, v41, v3
	v_add_f32_e32 v2, v42, v2
	v_fma_f32 v41, 0xbf7ba420, v58, -v100
	v_fmamk_f32 v42, v57, 0xbf59a7d5, v95
	v_mul_f32_e32 v101, 0x3f06c442, v111
	v_add_f32_e32 v72, v23, v21
	v_mul_f32_e32 v109, 0xbe3c28d5, v142
	v_fmamk_f32 v43, v70, 0xbf7ba420, v107
	v_mul_f32_e32 v97, 0x3f763a35, v112
	v_add_f32_e32 v3, v41, v3
	v_add_f32_e32 v41, v42, v2
	v_fma_f32 v42, 0xbf59a7d5, v59, -v101
	v_mul_f32_e32 v103, 0x3f763a35, v113
	v_fma_f32 v44, 0xbf7ba420, v72, -v109
	v_fmamk_f32 v45, v61, 0xbe8c1d8e, v97
	v_add_f32_e32 v2, v43, v0
	v_mul_f32_e32 v98, 0x3f65296c, v114
	v_add_f32_e32 v0, v42, v3
	v_fma_f32 v42, 0xbe8c1d8e, v62, -v103
	v_mul_f32_e32 v105, 0x3f65296c, v118
	v_mul_f32_e32 v153, 0xbf65296c, v73
	v_add_f32_e32 v41, v45, v41
	v_fmamk_f32 v43, v65, 0x3ee437d1, v98
	v_add_f32_e32 v3, v44, v1
	v_add_f32_e32 v0, v42, v0
	v_fma_f32 v1, 0x3ee437d1, v66, -v105
	v_fmamk_f32 v42, v71, 0x3ee437d1, v153
	v_mul_f32_e32 v116, 0xbf4c4adb, v83
	v_mul_f32_e32 v158, 0xbf65296c, v76
	v_add_f32_e32 v41, v43, v41
	v_add_f32_e32 v1, v1, v0
	v_mul_f32_e32 v102, 0x3eb8f4ab, v141
	v_add_f32_e32 v0, v42, v4
	v_fmamk_f32 v42, v39, 0xbf1a4643, v116
	v_fma_f32 v43, 0x3ee437d1, v74, -v158
	v_mul_f32_e32 v127, 0xbf4c4adb, v85
	v_mul_f32_e32 v119, 0x3e3c28d5, v88
	v_fmamk_f32 v44, v70, 0x3f6eb680, v102
	v_add_f32_e32 v42, v42, v0
	v_add_f32_e32 v43, v43, v5
	v_fma_f32 v45, 0xbf1a4643, v51, -v127
	v_fmamk_f32 v46, v52, 0xbf7ba420, v119
	v_mul_f32_e32 v131, 0x3e3c28d5, v90
	v_mul_f32_e32 v122, 0x3f763a35, v104
	v_add_f32_e32 v0, v44, v41
	v_add_f32_e32 v41, v45, v43
	;; [unrolled: 1-line block ×3, first 2 shown]
	v_fma_f32 v43, 0xbf7ba420, v53, -v131
	v_fmamk_f32 v44, v54, 0xbe8c1d8e, v122
	v_mul_f32_e32 v134, 0x3f763a35, v106
	v_mul_f32_e32 v125, 0x3f2c7751, v110
	;; [unrolled: 1-line block ×3, first 2 shown]
	v_add_f32_e32 v41, v43, v41
	v_add_f32_e32 v42, v44, v42
	v_fma_f32 v43, 0xbe8c1d8e, v58, -v134
	v_fmamk_f32 v44, v57, 0x3f3d2fb0, v125
	v_mul_f32_e32 v129, 0xbeb8f4ab, v112
	v_mul_f32_e32 v108, 0x3eb8f4ab, v142
	;; [unrolled: 1-line block ×3, first 2 shown]
	v_add_f32_e32 v41, v43, v41
	v_add_f32_e32 v42, v44, v42
	v_fma_f32 v43, 0x3f3d2fb0, v59, -v137
	v_fmamk_f32 v44, v61, 0x3f6eb680, v129
	v_mul_f32_e32 v132, 0xbf7ee86f, v114
	v_fma_f32 v45, 0x3f6eb680, v72, -v108
	v_mul_f32_e32 v139, 0xbf7ee86f, v118
	v_add_f32_e32 v41, v43, v41
	v_fma_f32 v43, 0x3f6eb680, v62, -v138
	v_add_f32_e32 v42, v44, v42
	v_fmamk_f32 v44, v65, 0x3dbcf732, v132
	v_mul_f32_e32 v164, 0xbf7ee86f, v73
	v_mul_f32_e32 v165, 0xbf7ee86f, v76
	v_add_f32_e32 v1, v45, v1
	v_add_f32_e32 v41, v43, v41
	;; [unrolled: 1-line block ×3, first 2 shown]
	v_fma_f32 v43, 0x3dbcf732, v66, -v139
	v_fmamk_f32 v44, v71, 0x3dbcf732, v164
	v_mul_f32_e32 v115, 0xbe3c28d5, v83
	v_fma_f32 v45, 0x3dbcf732, v74, -v165
	v_mul_f32_e32 v121, 0xbe3c28d5, v85
	v_add_f32_e32 v43, v43, v41
	v_add_f32_e32 v41, v44, v4
	v_fmamk_f32 v44, v39, 0xbf7ba420, v115
	v_add_f32_e32 v45, v45, v5
	v_fma_f32 v46, 0xbf7ba420, v51, -v121
	v_mul_f32_e32 v117, 0x3f763a35, v88
	v_mul_f32_e32 v124, 0x3f763a35, v90
	;; [unrolled: 1-line block ×3, first 2 shown]
	v_add_f32_e32 v41, v44, v41
	v_add_f32_e32 v44, v46, v45
	v_fmamk_f32 v45, v52, 0xbe8c1d8e, v117
	v_fma_f32 v46, 0xbe8c1d8e, v53, -v124
	v_mul_f32_e32 v120, 0x3eb8f4ab, v104
	v_mul_f32_e32 v128, 0x3eb8f4ab, v106
	v_fmamk_f32 v47, v70, 0xbf59a7d5, v143
	v_add_f32_e32 v45, v45, v41
	v_add_f32_e32 v44, v46, v44
	v_fmamk_f32 v46, v54, 0x3f6eb680, v120
	v_fma_f32 v48, 0x3f6eb680, v58, -v128
	v_mul_f32_e32 v123, 0xbf65296c, v110
	v_mul_f32_e32 v133, 0xbf65296c, v111
	v_add_f32_e32 v41, v47, v42
	v_add_f32_e32 v42, v46, v45
	;; [unrolled: 1-line block ×3, first 2 shown]
	v_fmamk_f32 v45, v57, 0x3ee437d1, v123
	v_fma_f32 v46, 0x3ee437d1, v59, -v133
	v_mul_f32_e32 v126, 0xbf06c442, v112
	v_mul_f32_e32 v135, 0xbf06c442, v113
	;; [unrolled: 1-line block ×3, first 2 shown]
	v_add_f32_e32 v42, v45, v42
	v_add_f32_e32 v44, v46, v44
	v_fmamk_f32 v45, v61, 0xbf59a7d5, v126
	v_fma_f32 v46, 0xbf59a7d5, v62, -v135
	v_mul_f32_e32 v130, 0x3f4c4adb, v114
	v_mul_f32_e32 v136, 0x3f4c4adb, v118
	v_fma_f32 v47, 0xbf59a7d5, v72, -v145
	v_add_f32_e32 v45, v45, v42
	v_add_f32_e32 v44, v46, v44
	v_fmamk_f32 v46, v65, 0xbf1a4643, v130
	v_mul_f32_e32 v178, 0xbf763a35, v73
	v_mul_f32_e32 v179, 0xbf763a35, v76
	v_fma_f32 v48, 0xbf1a4643, v66, -v136
	v_add_f32_e32 v42, v47, v43
	v_add_f32_e32 v43, v46, v45
	v_fmamk_f32 v45, v71, 0xbe8c1d8e, v178
	v_mul_f32_e32 v148, 0x3f06c442, v83
	v_fma_f32 v46, 0xbe8c1d8e, v74, -v179
	v_mul_f32_e32 v151, 0x3f06c442, v85
	v_add_f32_e32 v44, v48, v44
	v_add_f32_e32 v45, v45, v4
	v_fmamk_f32 v47, v39, 0xbf59a7d5, v148
	v_add_f32_e32 v46, v46, v5
	v_fma_f32 v48, 0xbf59a7d5, v51, -v151
	v_mul_f32_e32 v149, 0x3f2c7751, v88
	v_mul_f32_e32 v154, 0x3f2c7751, v90
	v_add_f32_e32 v45, v47, v45
	v_mul_f32_e32 v150, 0xbf65296c, v104
	v_add_f32_e32 v46, v48, v46
	v_fmamk_f32 v47, v52, 0x3f3d2fb0, v149
	v_fma_f32 v48, 0x3f3d2fb0, v53, -v154
	v_mul_f32_e32 v156, 0xbf65296c, v106
	v_mul_f32_e32 v152, 0xbe3c28d5, v110
	v_mul_f32_e32 v159, 0xbe3c28d5, v111
	v_add_f32_e32 v45, v47, v45
	v_add_f32_e32 v46, v48, v46
	v_fmamk_f32 v47, v54, 0x3ee437d1, v150
	v_fma_f32 v48, 0x3ee437d1, v58, -v156
	v_mul_f32_e32 v140, 0x3f2c7751, v141
	v_mul_f32_e32 v155, 0x3f7ee86f, v112
	;; [unrolled: 1-line block ×3, first 2 shown]
	v_add_f32_e32 v45, v47, v45
	v_add_f32_e32 v46, v48, v46
	v_fmamk_f32 v47, v57, 0xbf7ba420, v152
	v_fma_f32 v48, 0xbf7ba420, v59, -v159
	v_fmamk_f32 v49, v70, 0x3f3d2fb0, v140
	v_mul_f32_e32 v144, 0x3f2c7751, v142
	v_mul_f32_e32 v157, 0xbeb8f4ab, v114
	v_add_f32_e32 v45, v47, v45
	v_add_f32_e32 v46, v48, v46
	v_fmamk_f32 v47, v61, 0x3dbcf732, v155
	v_fma_f32 v48, 0x3dbcf732, v62, -v160
	v_mul_f32_e32 v189, 0xbf4c4adb, v73
	v_add_f32_e32 v43, v49, v43
	v_fma_f32 v49, 0x3f3d2fb0, v72, -v144
	v_add_f32_e32 v45, v47, v45
	v_add_f32_e32 v46, v48, v46
	v_fmamk_f32 v47, v65, 0x3f6eb680, v157
	v_mul_f32_e32 v161, 0xbeb8f4ab, v118
	v_fmamk_f32 v48, v71, 0xbf1a4643, v189
	v_mul_f32_e32 v166, 0x3f763a35, v83
	v_mul_f32_e32 v196, 0xbf4c4adb, v76
	v_add_f32_e32 v44, v49, v44
	v_add_f32_e32 v45, v47, v45
	v_fma_f32 v47, 0x3f6eb680, v66, -v161
	v_add_f32_e32 v48, v48, v4
	v_fmamk_f32 v49, v39, 0xbe8c1d8e, v166
	v_fma_f32 v50, 0xbf1a4643, v74, -v196
	v_mul_f32_e32 v170, 0x3f763a35, v85
	v_mul_f32_e32 v167, 0xbeb8f4ab, v88
	v_add_f32_e32 v46, v47, v46
	v_add_f32_e32 v47, v49, v48
	;; [unrolled: 1-line block ×3, first 2 shown]
	v_fma_f32 v49, 0xbe8c1d8e, v51, -v170
	v_fmamk_f32 v50, v52, 0x3f6eb680, v167
	v_mul_f32_e32 v172, 0xbeb8f4ab, v90
	v_mul_f32_e32 v168, 0xbf06c442, v104
	v_mul_f32_e32 v174, 0xbf06c442, v106
	v_add_f32_e32 v48, v49, v48
	v_add_f32_e32 v47, v50, v47
	v_fma_f32 v49, 0x3f6eb680, v53, -v172
	v_fmamk_f32 v50, v54, 0xbf59a7d5, v168
	v_mul_f32_e32 v169, 0x3f7ee86f, v110
	v_mul_f32_e32 v175, 0x3f7ee86f, v111
	v_mul_f32_e32 v171, 0xbf2c7751, v112
	v_add_f32_e32 v48, v49, v48
	v_add_f32_e32 v47, v50, v47
	v_fma_f32 v49, 0xbf59a7d5, v58, -v174
	v_fmamk_f32 v50, v57, 0x3dbcf732, v169
	v_mul_f32_e32 v176, 0xbf2c7751, v113
	v_mul_f32_e32 v173, 0xbe3c28d5, v114
	v_mul_f32_e32 v198, 0xbf06c442, v73
	v_add_f32_e32 v48, v49, v48
	v_add_f32_e32 v47, v50, v47
	v_fma_f32 v49, 0x3dbcf732, v59, -v175
	v_fmamk_f32 v50, v61, 0x3f3d2fb0, v171
	v_mul_f32_e32 v199, 0xbf06c442, v76
	v_mul_f32_e32 v182, 0x3f65296c, v83
	v_mul_f32_e32 v185, 0x3f65296c, v85
	v_add_f32_e32 v48, v49, v48
	v_add_f32_e32 v47, v50, v47
	v_fma_f32 v49, 0x3f3d2fb0, v62, -v176
	v_fmamk_f32 v50, v65, 0xbf7ba420, v173
	v_mul_f32_e32 v177, 0xbe3c28d5, v118
	v_fmamk_f32 v180, v39, 0x3ee437d1, v182
	v_fma_f32 v181, 0x3ee437d1, v51, -v185
	v_add_f32_e32 v48, v49, v48
	v_add_f32_e32 v47, v50, v47
	v_fmamk_f32 v49, v71, 0xbf59a7d5, v198
	v_fma_f32 v50, 0xbf59a7d5, v74, -v199
	v_mul_f32_e32 v183, 0xbf7ee86f, v88
	v_mul_f32_e32 v187, 0xbf7ee86f, v90
	v_fma_f32 v186, 0xbf7ba420, v66, -v177
	v_add_f32_e32 v49, v49, v4
	v_add_f32_e32 v50, v50, v5
	v_mul_f32_e32 v184, 0x3f4c4adb, v104
	v_mul_f32_e32 v190, 0x3f4c4adb, v106
	v_add_f32_e32 v48, v186, v48
	v_add_f32_e32 v49, v180, v49
	;; [unrolled: 1-line block ×3, first 2 shown]
	v_fmamk_f32 v180, v52, 0x3dbcf732, v183
	v_fma_f32 v181, 0x3dbcf732, v53, -v187
	v_fma_f32 v188, 0xbf1a4643, v58, -v190
	v_mul_f32_e32 v186, 0xbeb8f4ab, v110
	v_mul_f32_e32 v192, 0xbeb8f4ab, v111
	v_add_f32_e32 v49, v180, v49
	v_add_f32_e32 v50, v181, v50
	v_fmamk_f32 v181, v54, 0xbf1a4643, v184
	v_mul_f32_e32 v194, 0xbe3c28d5, v113
	v_fma_f32 v191, 0x3f6eb680, v59, -v192
	v_mul_f32_e32 v162, 0xbf4c4adb, v141
	v_add_f32_e32 v50, v188, v50
	v_add_f32_e32 v49, v181, v49
	v_fmamk_f32 v181, v57, 0x3f6eb680, v186
	v_mul_f32_e32 v188, 0xbe3c28d5, v112
	v_fma_f32 v197, 0xbf7ba420, v62, -v194
	v_add_f32_e32 v50, v191, v50
	v_mul_f32_e32 v191, 0x3f2c7751, v114
	v_add_f32_e32 v49, v181, v49
	v_fmamk_f32 v193, v61, 0xbf7ba420, v188
	v_mul_f32_e32 v195, 0x3f2c7751, v118
	v_fmamk_f32 v82, v70, 0xbf1a4643, v162
	v_mul_f32_e32 v163, 0xbf4c4adb, v142
	v_mul_f32_e32 v180, 0x3f65296c, v141
	;; [unrolled: 1-line block ×3, first 2 shown]
	v_add_f32_e32 v49, v193, v49
	v_add_f32_e32 v50, v197, v50
	v_fmamk_f32 v201, v65, 0x3f3d2fb0, v191
	v_fma_f32 v202, 0x3f3d2fb0, v66, -v195
	v_mul_f32_e32 v193, 0xbf763a35, v141
	v_mul_f32_e32 v197, 0xbf763a35, v142
	v_add_f32_e32 v45, v82, v45
	v_fma_f32 v82, 0xbf1a4643, v72, -v163
	v_fmamk_f32 v200, v70, 0x3ee437d1, v180
	v_fma_f32 v203, 0x3ee437d1, v72, -v181
	v_add_f32_e32 v49, v201, v49
	v_add_f32_e32 v50, v202, v50
	v_fmamk_f32 v201, v70, 0xbe8c1d8e, v193
	v_fma_f32 v202, 0xbe8c1d8e, v72, -v197
	v_add_f32_e32 v46, v82, v46
	v_add_f32_e32 v47, v200, v47
	v_add_f32_e32 v48, v203, v48
	v_add_f32_e32 v49, v201, v49
	v_add_f32_e32 v50, v202, v50
	v_mul_lo_u16 v82, v80, 17
	s_barrier
	buffer_gl0_inv
	s_and_saveexec_b32 s4, vcc_lo
	s_cbranch_execz .LBB0_7
; %bb.6:
	v_add_f32_e32 v7, v7, v5
	v_add_f32_e32 v6, v6, v4
	;; [unrolled: 1-line block ×4, first 2 shown]
	v_mul_f32_e32 v28, 0xbe3c28d5, v73
	v_mul_f32_e32 v73, 0xbf4c4adb, v110
	v_add_f32_e32 v7, v31, v7
	v_add_f32_e32 v6, v30, v6
	v_fma_f32 v29, 0xbf7ba420, v71, -v28
	v_fmac_f32_e32 v28, 0xbf7ba420, v71
	v_add_f32_e32 v7, v25, v7
	v_add_f32_e32 v6, v24, v6
	v_mul_f32_e32 v25, 0x3f6eb680, v71
	v_mul_f32_e32 v24, 0x3f6eb680, v74
	v_add_f32_e32 v29, v29, v4
	v_add_f32_e32 v7, v27, v7
	;; [unrolled: 1-line block ×3, first 2 shown]
	v_sub_f32_e32 v25, v25, v86
	v_mul_f32_e32 v26, 0xbe3c28d5, v76
	v_add_f32_e32 v28, v28, v4
	v_add_f32_e32 v7, v33, v7
	;; [unrolled: 1-line block ×4, first 2 shown]
	v_fmamk_f32 v27, v74, 0xbf7ba420, v26
	v_mul_f32_e32 v32, 0x3eb8f4ab, v85
	v_add_f32_e32 v7, v35, v7
	v_add_f32_e32 v6, v34, v6
	;; [unrolled: 1-line block ×3, first 2 shown]
	v_fma_f32 v26, 0xbf7ba420, v74, -v26
	v_add_f32_e32 v27, v27, v5
	v_add_f32_e32 v7, v21, v7
	;; [unrolled: 1-line block ×3, first 2 shown]
	v_mul_f32_e32 v21, 0x3ee437d1, v71
	v_mul_f32_e32 v20, 0x3ee437d1, v74
	v_add_f32_e32 v24, v24, v5
	v_add_f32_e32 v7, v23, v7
	;; [unrolled: 1-line block ×3, first 2 shown]
	v_mul_f32_e32 v23, 0x3f3d2fb0, v71
	v_sub_f32_e32 v21, v21, v153
	v_mul_f32_e32 v22, 0x3f3d2fb0, v74
	v_add_f32_e32 v7, v17, v7
	v_add_f32_e32 v6, v16, v6
	v_mul_f32_e32 v17, 0xbe8c1d8e, v71
	v_sub_f32_e32 v23, v23, v146
	v_mul_f32_e32 v16, 0xbe8c1d8e, v74
	v_add_f32_e32 v7, v19, v7
	v_add_f32_e32 v6, v18, v6
	v_mul_f32_e32 v19, 0x3dbcf732, v71
	v_sub_f32_e32 v17, v17, v178
	v_mul_f32_e32 v18, 0x3dbcf732, v74
	v_add_f32_e32 v7, v13, v7
	v_mul_f32_e32 v13, 0xbf59a7d5, v71
	v_add_f32_e32 v6, v12, v6
	v_sub_f32_e32 v19, v19, v164
	v_mul_f32_e32 v12, 0xbf59a7d5, v74
	v_add_f32_e32 v7, v15, v7
	v_mul_f32_e32 v15, 0xbf1a4643, v71
	v_sub_f32_e32 v13, v13, v198
	v_add_f32_e32 v6, v14, v6
	v_mul_f32_e32 v14, 0xbf1a4643, v74
	v_add_f32_e32 v17, v17, v4
	v_sub_f32_e32 v15, v15, v189
	v_add_f32_e32 v13, v13, v4
	v_add_f32_e32 v19, v19, v4
	v_add_f32_e32 v21, v21, v4
	v_add_f32_e32 v23, v23, v4
	v_add_f32_e32 v15, v15, v4
	v_add_f32_e32 v4, v9, v7
	v_add_f32_e32 v12, v199, v12
	v_add_f32_e32 v14, v196, v14
	v_add_f32_e32 v16, v179, v16
	v_add_f32_e32 v18, v165, v18
	v_add_f32_e32 v20, v158, v20
	v_add_f32_e32 v22, v147, v22
	v_add_f32_e32 v30, v11, v4
	v_fmamk_f32 v4, v51, 0x3f6eb680, v32
	v_add_f32_e32 v12, v12, v5
	v_add_f32_e32 v14, v14, v5
	;; [unrolled: 1-line block ×9, first 2 shown]
	v_mul_f32_e32 v27, 0x3eb8f4ab, v83
	v_mul_f32_e32 v33, 0xbf06c442, v88
	;; [unrolled: 1-line block ×3, first 2 shown]
	v_add_f32_e32 v31, v10, v5
	v_mul_f32_e32 v35, 0x3f2c7751, v104
	v_fma_f32 v5, 0x3f6eb680, v39, -v27
	v_mul_f32_e32 v71, 0xbf4c4adb, v111
	v_mul_f32_e32 v74, 0x3f65296c, v113
	;; [unrolled: 1-line block ×4, first 2 shown]
	v_add_f32_e32 v5, v5, v29
	v_mul_f32_e32 v29, 0xbf06c442, v90
	v_mul_f32_e32 v85, 0xbf763a35, v114
	;; [unrolled: 1-line block ×5, first 2 shown]
	v_fmamk_f32 v6, v53, 0xbf59a7d5, v29
	v_mul_f32_e32 v8, 0x3ee437d1, v39
	v_mul_f32_e32 v9, 0x3dbcf732, v52
	;; [unrolled: 1-line block ×3, first 2 shown]
	v_add_f32_e32 v7, v187, v7
	v_add_f32_e32 v4, v6, v4
	v_fma_f32 v6, 0xbf59a7d5, v52, -v33
	v_sub_f32_e32 v8, v8, v182
	v_sub_f32_e32 v9, v9, v183
	v_add_f32_e32 v11, v176, v11
	v_fmac_f32_e32 v27, 0x3f6eb680, v39
	v_add_f32_e32 v5, v6, v5
	v_fmamk_f32 v6, v58, 0x3f3d2fb0, v34
	v_add_f32_e32 v8, v8, v13
	v_mul_f32_e32 v13, 0x3f3d2fb0, v52
	v_fmac_f32_e32 v33, 0xbf59a7d5, v52
	v_add_f32_e32 v4, v6, v4
	v_fma_f32 v6, 0x3f3d2fb0, v54, -v35
	v_add_f32_e32 v8, v9, v8
	v_mul_f32_e32 v9, 0xbf1a4643, v54
	v_sub_f32_e32 v13, v13, v149
	v_fmac_f32_e32 v35, 0x3f3d2fb0, v54
	v_add_f32_e32 v5, v6, v5
	v_fmamk_f32 v6, v59, 0xbf1a4643, v71
	v_sub_f32_e32 v9, v9, v184
	v_add_f32_e32 v4, v6, v4
	v_fma_f32 v6, 0xbf1a4643, v57, -v73
	v_fmac_f32_e32 v73, 0xbf1a4643, v57
	v_add_f32_e32 v5, v6, v5
	v_fmamk_f32 v6, v62, 0x3ee437d1, v74
	v_add_f32_e32 v4, v6, v4
	v_fma_f32 v6, 0x3ee437d1, v61, -v76
	v_fmac_f32_e32 v76, 0x3ee437d1, v61
	v_add_f32_e32 v5, v6, v5
	v_fmamk_f32 v6, v66, 0xbe8c1d8e, v83
	;; [unrolled: 5-line block ×3, first 2 shown]
	v_add_f32_e32 v5, v5, v4
	v_fma_f32 v4, 0x3dbcf732, v70, -v88
	v_fmac_f32_e32 v88, 0x3dbcf732, v70
	v_add_f32_e32 v4, v4, v6
	v_mul_f32_e32 v6, 0x3ee437d1, v51
	v_add_f32_e32 v6, v185, v6
	v_add_f32_e32 v6, v6, v12
	;; [unrolled: 1-line block ×3, first 2 shown]
	v_mul_f32_e32 v7, 0xbf1a4643, v58
	v_add_f32_e32 v7, v190, v7
	v_add_f32_e32 v6, v7, v6
	v_mul_f32_e32 v7, 0x3f6eb680, v59
	v_add_f32_e32 v7, v192, v7
	v_add_f32_e32 v6, v7, v6
	;; [unrolled: 3-line block ×3, first 2 shown]
	v_add_f32_e32 v7, v9, v8
	v_mul_f32_e32 v8, 0x3f6eb680, v57
	v_mul_f32_e32 v9, 0x3f3d2fb0, v66
	v_sub_f32_e32 v8, v8, v186
	v_add_f32_e32 v9, v195, v9
	v_add_f32_e32 v7, v8, v7
	v_mul_f32_e32 v8, 0xbf7ba420, v61
	v_add_f32_e32 v6, v9, v6
	v_mul_f32_e32 v9, 0xbe8c1d8e, v72
	v_sub_f32_e32 v8, v8, v188
	v_add_f32_e32 v9, v197, v9
	v_add_f32_e32 v7, v8, v7
	v_mul_f32_e32 v8, 0x3f3d2fb0, v65
	v_sub_f32_e32 v8, v8, v191
	v_add_f32_e32 v8, v8, v7
	v_mul_f32_e32 v7, 0xbe8c1d8e, v70
	v_sub_f32_e32 v10, v7, v193
	v_add_f32_e32 v7, v9, v6
	v_mul_f32_e32 v9, 0x3f6eb680, v53
	v_add_f32_e32 v6, v10, v8
	v_mul_f32_e32 v8, 0xbe8c1d8e, v51
	;; [unrolled: 2-line block ×3, first 2 shown]
	v_add_f32_e32 v8, v170, v8
	v_sub_f32_e32 v10, v10, v166
	v_add_f32_e32 v8, v8, v14
	v_add_f32_e32 v8, v9, v8
	v_mul_f32_e32 v9, 0xbf59a7d5, v58
	v_add_f32_e32 v9, v174, v9
	v_add_f32_e32 v8, v9, v8
	v_mul_f32_e32 v9, 0x3dbcf732, v59
	v_add_f32_e32 v9, v175, v9
	v_add_f32_e32 v8, v9, v8
	;; [unrolled: 1-line block ×3, first 2 shown]
	v_mul_f32_e32 v10, 0x3f6eb680, v52
	v_mul_f32_e32 v15, 0x3f6eb680, v62
	v_add_f32_e32 v8, v11, v8
	v_mul_f32_e32 v11, 0xbf7ba420, v66
	v_sub_f32_e32 v10, v10, v167
	v_add_f32_e32 v15, v138, v15
	v_add_f32_e32 v11, v177, v11
	;; [unrolled: 1-line block ×3, first 2 shown]
	v_mul_f32_e32 v10, 0xbf59a7d5, v54
	v_add_f32_e32 v8, v11, v8
	v_mul_f32_e32 v11, 0x3ee437d1, v72
	v_sub_f32_e32 v10, v10, v168
	v_add_f32_e32 v11, v181, v11
	v_add_f32_e32 v9, v10, v9
	v_mul_f32_e32 v10, 0x3dbcf732, v57
	v_sub_f32_e32 v10, v10, v169
	v_add_f32_e32 v9, v10, v9
	v_mul_f32_e32 v10, 0x3f3d2fb0, v61
	v_sub_f32_e32 v10, v10, v171
	;; [unrolled: 3-line block ×4, first 2 shown]
	v_add_f32_e32 v9, v11, v8
	v_mul_f32_e32 v11, 0x3f3d2fb0, v53
	v_add_f32_e32 v8, v12, v10
	v_mul_f32_e32 v10, 0xbf59a7d5, v51
	;; [unrolled: 2-line block ×3, first 2 shown]
	v_add_f32_e32 v10, v151, v10
	v_sub_f32_e32 v12, v12, v148
	v_add_f32_e32 v10, v10, v16
	v_add_f32_e32 v12, v12, v17
	v_mul_f32_e32 v17, 0x3ee437d1, v52
	v_add_f32_e32 v10, v11, v10
	v_mul_f32_e32 v11, 0x3ee437d1, v58
	;; [unrolled: 2-line block ×3, first 2 shown]
	v_sub_f32_e32 v17, v17, v60
	v_add_f32_e32 v11, v156, v11
	v_sub_f32_e32 v13, v13, v150
	v_add_f32_e32 v10, v11, v10
	v_mul_f32_e32 v11, 0xbf7ba420, v59
	v_add_f32_e32 v11, v159, v11
	v_add_f32_e32 v10, v11, v10
	v_mul_f32_e32 v11, 0x3dbcf732, v62
	v_add_f32_e32 v11, v160, v11
	v_add_f32_e32 v10, v11, v10
	;; [unrolled: 1-line block ×3, first 2 shown]
	v_mul_f32_e32 v12, 0xbf7ba420, v57
	v_mul_f32_e32 v13, 0x3f6eb680, v66
	v_sub_f32_e32 v12, v12, v152
	v_add_f32_e32 v13, v161, v13
	v_add_f32_e32 v11, v12, v11
	v_mul_f32_e32 v12, 0x3dbcf732, v61
	v_add_f32_e32 v10, v13, v10
	v_mul_f32_e32 v13, 0xbf1a4643, v72
	v_sub_f32_e32 v12, v12, v155
	v_add_f32_e32 v13, v163, v13
	v_add_f32_e32 v11, v12, v11
	v_mul_f32_e32 v12, 0x3f6eb680, v65
	v_sub_f32_e32 v12, v12, v157
	v_add_f32_e32 v12, v12, v11
	v_mul_f32_e32 v11, 0xbf1a4643, v70
	v_sub_f32_e32 v14, v11, v162
	v_add_f32_e32 v11, v13, v10
	v_mul_f32_e32 v13, 0xbf7ba420, v53
	v_add_f32_e32 v10, v14, v12
	v_mul_f32_e32 v12, 0xbf1a4643, v51
	v_add_f32_e32 v13, v131, v13
	v_mul_f32_e32 v14, 0xbf1a4643, v39
	v_add_f32_e32 v12, v127, v12
	v_sub_f32_e32 v14, v14, v116
	v_add_f32_e32 v12, v12, v20
	v_add_f32_e32 v12, v13, v12
	v_mul_f32_e32 v13, 0xbe8c1d8e, v58
	v_add_f32_e32 v13, v134, v13
	v_add_f32_e32 v12, v13, v12
	v_mul_f32_e32 v13, 0x3f3d2fb0, v59
	v_add_f32_e32 v13, v137, v13
	v_add_f32_e32 v12, v13, v12
	;; [unrolled: 1-line block ×3, first 2 shown]
	v_mul_f32_e32 v14, 0xbf7ba420, v52
	v_mul_f32_e32 v21, 0xbf1a4643, v52
	v_add_f32_e32 v12, v15, v12
	v_mul_f32_e32 v15, 0x3dbcf732, v66
	v_sub_f32_e32 v14, v14, v119
	v_sub_f32_e32 v21, v21, v93
	v_add_f32_e32 v15, v139, v15
	v_add_f32_e32 v13, v14, v13
	v_mul_f32_e32 v14, 0xbe8c1d8e, v54
	v_add_f32_e32 v12, v15, v12
	v_mul_f32_e32 v15, 0xbf59a7d5, v72
	v_sub_f32_e32 v14, v14, v122
	v_add_f32_e32 v15, v145, v15
	v_add_f32_e32 v13, v14, v13
	v_mul_f32_e32 v14, 0x3f3d2fb0, v57
	v_sub_f32_e32 v14, v14, v125
	v_add_f32_e32 v13, v14, v13
	v_mul_f32_e32 v14, 0x3f6eb680, v61
	v_sub_f32_e32 v14, v14, v129
	;; [unrolled: 3-line block ×4, first 2 shown]
	v_add_f32_e32 v13, v15, v12
	v_mul_f32_e32 v15, 0x3f3d2fb0, v39
	v_add_f32_e32 v12, v16, v14
	v_mul_f32_e32 v14, 0x3f3d2fb0, v51
	v_mul_f32_e32 v16, 0x3ee437d1, v53
	v_sub_f32_e32 v15, v15, v55
	v_add_f32_e32 v14, v56, v14
	v_add_f32_e32 v16, v64, v16
	;; [unrolled: 1-line block ×5, first 2 shown]
	v_mul_f32_e32 v17, 0x3dbcf732, v54
	v_add_f32_e32 v14, v16, v14
	v_mul_f32_e32 v16, 0x3dbcf732, v58
	v_sub_f32_e32 v17, v17, v63
	v_add_f32_e32 v16, v68, v16
	v_add_f32_e32 v15, v17, v15
	v_mul_f32_e32 v17, 0xbe8c1d8e, v57
	v_add_f32_e32 v14, v16, v14
	v_mul_f32_e32 v16, 0xbe8c1d8e, v59
	v_sub_f32_e32 v17, v17, v67
	v_add_f32_e32 v16, v69, v16
	v_add_f32_e32 v15, v17, v15
	;; [unrolled: 6-line block ×5, first 2 shown]
	v_mul_f32_e32 v16, 0xbf7ba420, v51
	v_add_f32_e32 v14, v20, v17
	v_mul_f32_e32 v17, 0xbe8c1d8e, v53
	v_mul_f32_e32 v20, 0x3dbcf732, v39
	v_add_f32_e32 v16, v121, v16
	v_add_f32_e32 v17, v124, v17
	v_sub_f32_e32 v20, v20, v92
	v_add_f32_e32 v16, v16, v18
	v_mul_f32_e32 v18, 0xbf7ba420, v39
	v_add_f32_e32 v20, v20, v23
	v_fma_f32 v23, 0xbf59a7d5, v53, -v29
	v_add_f32_e32 v16, v17, v16
	v_mul_f32_e32 v17, 0x3f6eb680, v58
	v_sub_f32_e32 v18, v18, v115
	v_add_f32_e32 v20, v21, v20
	v_mul_f32_e32 v21, 0xbf7ba420, v54
	v_add_f32_e32 v17, v128, v17
	v_sub_f32_e32 v21, v21, v94
	v_add_f32_e32 v16, v17, v16
	v_mul_f32_e32 v17, 0x3ee437d1, v59
	v_add_f32_e32 v20, v21, v20
	v_mul_f32_e32 v21, 0xbf59a7d5, v57
	v_add_f32_e32 v17, v133, v17
	v_sub_f32_e32 v21, v21, v95
	v_add_f32_e32 v16, v17, v16
	v_add_f32_e32 v17, v18, v19
	v_mul_f32_e32 v18, 0xbe8c1d8e, v52
	v_mul_f32_e32 v19, 0xbf59a7d5, v62
	v_add_f32_e32 v20, v21, v20
	v_fma_f32 v21, 0x3f6eb680, v51, -v32
	v_sub_f32_e32 v18, v18, v117
	v_add_f32_e32 v19, v135, v19
	v_add_f32_e32 v21, v21, v26
	v_mul_f32_e32 v26, 0x3f6eb680, v72
	v_add_f32_e32 v17, v18, v17
	v_mul_f32_e32 v18, 0x3f6eb680, v54
	;; [unrolled: 2-line block ×4, first 2 shown]
	v_sub_f32_e32 v18, v18, v120
	v_add_f32_e32 v26, v108, v26
	v_add_f32_e32 v19, v136, v19
	v_sub_f32_e32 v23, v23, v98
	v_add_f32_e32 v17, v18, v17
	v_mul_f32_e32 v18, 0x3ee437d1, v57
	v_add_f32_e32 v16, v19, v16
	v_mul_f32_e32 v19, 0x3f3d2fb0, v72
	v_sub_f32_e32 v18, v18, v123
	v_add_f32_e32 v19, v144, v19
	v_add_f32_e32 v17, v18, v17
	v_mul_f32_e32 v18, 0xbf59a7d5, v61
	v_sub_f32_e32 v18, v18, v126
	v_add_f32_e32 v17, v18, v17
	v_mul_f32_e32 v18, 0xbf1a4643, v65
	v_sub_f32_e32 v18, v18, v130
	v_add_f32_e32 v24, v18, v17
	v_mul_f32_e32 v17, 0x3dbcf732, v51
	v_mul_f32_e32 v18, 0x3f3d2fb0, v70
	v_add_f32_e32 v17, v96, v17
	v_sub_f32_e32 v25, v18, v140
	v_mul_f32_e32 v18, 0xbf1a4643, v53
	v_add_f32_e32 v17, v17, v22
	v_mul_f32_e32 v22, 0xbe8c1d8e, v61
	v_add_f32_e32 v18, v99, v18
	v_sub_f32_e32 v22, v22, v97
	v_add_f32_e32 v17, v18, v17
	v_mul_f32_e32 v18, 0xbf7ba420, v58
	v_add_f32_e32 v18, v100, v18
	v_add_f32_e32 v17, v18, v17
	v_mul_f32_e32 v18, 0xbf59a7d5, v59
	v_add_f32_e32 v18, v101, v18
	;; [unrolled: 3-line block ×4, first 2 shown]
	v_add_f32_e32 v18, v18, v17
	v_add_f32_e32 v17, v22, v20
	;; [unrolled: 1-line block ×3, first 2 shown]
	v_fma_f32 v22, 0x3f3d2fb0, v58, -v34
	v_mul_f32_e32 v27, 0x3f6eb680, v70
	v_fma_f32 v28, 0x3dbcf732, v72, -v86
	v_add_f32_e32 v23, v23, v17
	v_add_f32_e32 v20, v33, v20
	;; [unrolled: 1-line block ×3, first 2 shown]
	v_fma_f32 v22, 0xbf1a4643, v59, -v71
	v_add_f32_e32 v17, v19, v16
	v_add_f32_e32 v19, v26, v18
	;; [unrolled: 1-line block ×3, first 2 shown]
	v_fma_f32 v16, 0xbe8c1d8e, v66, -v83
	v_add_f32_e32 v21, v22, v21
	v_fma_f32 v22, 0x3ee437d1, v62, -v74
	v_and_b32_e32 v26, 0xffff, v82
	v_add_f32_e32 v20, v73, v20
	v_sub_f32_e32 v27, v27, v102
	v_add_f32_e32 v22, v22, v21
	v_add_f32_e32 v21, v37, v30
	v_add_f32_e32 v18, v76, v20
	v_add_f32_e32 v20, v36, v31
	v_add_lshl_u32 v26, v38, v26, 3
	v_add_f32_e32 v22, v16, v22
	v_add_f32_e32 v16, v25, v24
	;; [unrolled: 1-line block ×6, first 2 shown]
	ds_write2_b64 v26, v[20:21], v[14:15] offset1:1
	ds_write2_b64 v26, v[18:19], v[12:13] offset0:2 offset1:3
	ds_write2_b64 v26, v[16:17], v[10:11] offset0:4 offset1:5
	;; [unrolled: 1-line block ×7, first 2 shown]
	ds_write_b64 v26, v[2:3] offset:128
.LBB0_7:
	s_or_b32 exec_lo, exec_lo, s4
	v_add_nc_u16 v6, v80, 34
	s_load_dwordx4 s[4:7], s[0:1], 0x0
	v_add_co_u32 v4, s0, 0xffffffef, v80
	v_add_co_ci_u32_e64 v5, null, 0, -1, s0
	v_and_b32_e32 v7, 0xff, v6
	v_add_nc_u16 v8, v80, 0x44
	v_cmp_gt_u16_e64 s0, 17, v80
	v_add_nc_u16 v9, v80, 0x66
	v_add_nc_u16 v10, v80, 0x88
	s_waitcnt lgkmcnt(0)
	s_barrier
	v_cndmask_b32_e64 v21, v5, 0, s0
	v_mul_lo_u16 v5, 0xf1, v7
	v_and_b32_e32 v7, 0xff, v8
	v_cndmask_b32_e64 v20, v4, v80, s0
	v_and_b32_e32 v11, 0xff, v9
	v_and_b32_e32 v12, 0xff, v10
	v_lshrrev_b16 v26, 12, v5
	v_mul_lo_u16 v7, 0xf1, v7
	v_lshlrev_b64 v[4:5], 3, v[20:21]
	buffer_gl0_inv
	v_add_lshl_u32 v84, v38, v80, 3
	v_mul_lo_u16 v13, v26, 17
	v_lshrrev_b16 v27, 12, v7
	v_mul_lo_u16 v7, 0xf1, v11
	v_mul_lo_u16 v11, 0xf1, v12
	v_add_co_u32 v4, s0, s2, v4
	v_add_co_ci_u32_e64 v5, s0, s3, v5, s0
	v_lshrrev_b16 v28, 12, v7
	v_lshrrev_b16 v30, 12, v11
	v_sub_nc_u16 v29, v6, v13
	v_mul_lo_u16 v6, v27, 17
	global_load_dwordx2 v[57:58], v[4:5], off
	v_mul_lo_u16 v4, v28, 17
	v_mov_b32_e32 v5, 3
	v_mul_lo_u16 v7, v30, 17
	v_sub_nc_u16 v31, v8, v6
	v_cmp_lt_u16_e64 s0, 16, v80
	v_sub_nc_u16 v32, v9, v4
	v_lshlrev_b32_sdwa v4, v5, v29 dst_sel:DWORD dst_unused:UNUSED_PAD src0_sel:DWORD src1_sel:BYTE_0
	v_sub_nc_u16 v33, v10, v7
	v_lshlrev_b32_sdwa v6, v5, v31 dst_sel:DWORD dst_unused:UNUSED_PAD src0_sel:DWORD src1_sel:BYTE_0
	v_cndmask_b32_e64 v21, 0, 34, s0
	v_lshlrev_b32_sdwa v7, v5, v32 dst_sel:DWORD dst_unused:UNUSED_PAD src0_sel:DWORD src1_sel:BYTE_0
	global_load_dwordx2 v[59:60], v4, s[2:3]
	v_lshlrev_b32_sdwa v4, v5, v33 dst_sel:DWORD dst_unused:UNUSED_PAD src0_sel:DWORD src1_sel:BYTE_0
	s_clause 0x2
	global_load_dwordx2 v[55:56], v6, s[2:3]
	global_load_dwordx2 v[53:54], v7, s[2:3]
	;; [unrolled: 1-line block ×3, first 2 shown]
	ds_read2_b64 v[4:7], v84 offset0:136 offset1:170
	v_add_nc_u32_e32 v36, 0x800, v84
	ds_read2_b64 v[8:11], v84 offset1:34
	ds_read2_b64 v[12:15], v84 offset0:204 offset1:238
	ds_read2_b64 v[16:19], v84 offset0:68 offset1:102
	v_mov_b32_e32 v34, 34
	v_add_nc_u32_e32 v35, v20, v21
	v_mad_u16 v26, v26, 34, v29
	ds_read2_b64 v[20:23], v36 offset0:16 offset1:50
	v_mad_u64_u32 v[24:25], null, 0x48, v80, s[2:3]
	v_mul_u32_u24_sdwa v27, v27, v34 dst_sel:DWORD dst_unused:UNUSED_PAD src0_sel:WORD_0 src1_sel:DWORD
	v_mul_u32_u24_sdwa v28, v28, v34 dst_sel:DWORD dst_unused:UNUSED_PAD src0_sel:WORD_0 src1_sel:DWORD
	;; [unrolled: 1-line block ×3, first 2 shown]
	v_and_b32_e32 v26, 0xff, v26
	v_add_lshl_u32 v88, v38, v35, 3
	v_add_nc_u32_sdwa v27, v27, v31 dst_sel:DWORD dst_unused:UNUSED_PAD src0_sel:DWORD src1_sel:BYTE_0
	v_add_nc_u32_sdwa v28, v28, v32 dst_sel:DWORD dst_unused:UNUSED_PAD src0_sel:DWORD src1_sel:BYTE_0
	v_add_nc_u32_sdwa v29, v30, v33 dst_sel:DWORD dst_unused:UNUSED_PAD src0_sel:DWORD src1_sel:BYTE_0
	v_add_lshl_u32 v90, v38, v26, 3
	s_waitcnt vmcnt(0) lgkmcnt(0)
	v_add_lshl_u32 v89, v38, v27, 3
	v_add_lshl_u32 v87, v38, v28, 3
	;; [unrolled: 1-line block ×3, first 2 shown]
	s_barrier
	buffer_gl0_inv
	v_lshl_add_u32 v83, v80, 3, v81
	v_lshl_add_u32 v85, v80, 3, v81
	v_add_nc_u32_e32 v65, 0x400, v83
	v_mul_f32_e32 v31, v6, v58
	v_mul_f32_e32 v30, v7, v58
	v_fmac_f32_e32 v31, v7, v57
	v_fma_f32 v6, v6, v57, -v30
	v_sub_f32_e32 v7, v9, v31
	v_sub_f32_e32 v6, v8, v6
	v_mul_f32_e32 v26, v13, v60
	v_mul_f32_e32 v27, v12, v60
	;; [unrolled: 1-line block ×8, first 2 shown]
	v_fma_f32 v12, v12, v59, -v26
	v_fmac_f32_e32 v27, v13, v59
	v_fma_f32 v14, v14, v55, -v28
	v_fmac_f32_e32 v29, v15, v55
	;; [unrolled: 2-line block ×4, first 2 shown]
	v_sub_f32_e32 v12, v10, v12
	v_sub_f32_e32 v13, v11, v27
	;; [unrolled: 1-line block ×8, first 2 shown]
	v_fma_f32 v8, v8, 2.0, -v6
	v_fma_f32 v9, v9, 2.0, -v7
	;; [unrolled: 1-line block ×10, first 2 shown]
	ds_write2_b64 v88, v[8:9], v[6:7] offset1:17
	ds_write2_b64 v90, v[10:11], v[12:13] offset1:17
	;; [unrolled: 1-line block ×5, first 2 shown]
	s_waitcnt lgkmcnt(0)
	s_barrier
	buffer_gl0_inv
	s_clause 0x4
	global_load_dwordx4 v[16:19], v[24:25], off offset:136
	global_load_dwordx4 v[12:15], v[24:25], off offset:152
	;; [unrolled: 1-line block ×4, first 2 shown]
	global_load_dwordx2 v[61:62], v[24:25], off offset:200
	ds_read2_b64 v[20:23], v84 offset1:34
	ds_read2_b64 v[24:27], v84 offset0:68 offset1:102
	ds_read2_b64 v[28:31], v84 offset0:136 offset1:170
	ds_read2_b64 v[32:35], v84 offset0:204 offset1:238
	ds_read2_b64 v[36:39], v36 offset0:16 offset1:50
	s_waitcnt vmcnt(4) lgkmcnt(4)
	v_mul_f32_e32 v63, v23, v17
	v_mul_f32_e32 v66, v22, v17
	s_waitcnt lgkmcnt(3)
	v_mul_f32_e32 v64, v25, v19
	v_mul_f32_e32 v67, v24, v19
	s_waitcnt vmcnt(3)
	v_mul_f32_e32 v68, v27, v13
	v_mul_f32_e32 v69, v26, v13
	s_waitcnt lgkmcnt(2)
	v_mul_f32_e32 v70, v29, v15
	v_mul_f32_e32 v71, v28, v15
	s_waitcnt vmcnt(2)
	;; [unrolled: 6-line block ×4, first 2 shown]
	v_mul_f32_e32 v94, v39, v62
	v_mul_f32_e32 v95, v38, v62
	v_fma_f32 v22, v22, v16, -v63
	v_fmac_f32_e32 v66, v23, v16
	v_fma_f32 v23, v24, v18, -v64
	v_fmac_f32_e32 v67, v25, v18
	;; [unrolled: 2-line block ×9, first 2 shown]
	v_add_f32_e32 v31, v20, v23
	v_add_f32_e32 v32, v25, v27
	v_sub_f32_e32 v33, v67, v93
	v_sub_f32_e32 v35, v23, v25
	;; [unrolled: 1-line block ×3, first 2 shown]
	v_add_f32_e32 v37, v23, v29
	v_sub_f32_e32 v38, v25, v23
	v_sub_f32_e32 v39, v27, v29
	v_add_f32_e32 v63, v21, v67
	v_sub_f32_e32 v70, v67, v71
	v_sub_f32_e32 v72, v93, v75
	;; [unrolled: 3-line block ×3, first 2 shown]
	v_add_f32_e32 v92, v22, v24
	v_add_f32_e32 v94, v26, v28
	;; [unrolled: 1-line block ×7, first 2 shown]
	v_sub_f32_e32 v68, v25, v27
	v_sub_f32_e32 v96, v69, v95
	;; [unrolled: 1-line block ×7, first 2 shown]
	v_add_f32_e32 v25, v31, v25
	v_fma_f32 v31, -0.5, v32, v20
	v_add_f32_e32 v32, v35, v36
	v_fma_f32 v20, -0.5, v37, v20
	v_add_f32_e32 v35, v38, v39
	v_add_f32_e32 v37, v70, v72
	;; [unrolled: 1-line block ×4, first 2 shown]
	v_fma_f32 v39, -0.5, v94, v22
	v_fmac_f32_e32 v22, -0.5, v100
	v_add_f32_e32 v67, v103, v73
	v_fma_f32 v70, -0.5, v104, v66
	v_fmac_f32_e32 v66, -0.5, v108
	v_sub_f32_e32 v34, v71, v75
	v_sub_f32_e32 v99, v30, v28
	;; [unrolled: 1-line block ×7, first 2 shown]
	v_add_f32_e32 v36, v63, v71
	v_fma_f32 v71, -0.5, v64, v21
	v_fma_f32 v21, -0.5, v74, v21
	v_add_f32_e32 v26, v26, v28
	v_fmamk_f32 v28, v96, 0x3f737871, v39
	v_fmac_f32_e32 v39, 0xbf737871, v96
	v_fmamk_f32 v76, v97, 0xbf737871, v22
	v_fmac_f32_e32 v22, 0x3f737871, v97
	v_add_f32_e32 v67, v67, v91
	v_fmamk_f32 v91, v24, 0xbf737871, v70
	v_fmac_f32_e32 v70, 0x3f737871, v24
	v_fmamk_f32 v92, v105, 0x3f737871, v66
	v_fmac_f32_e32 v66, 0xbf737871, v105
	v_sub_f32_e32 v23, v23, v29
	v_add_f32_e32 v63, v98, v99
	v_add_f32_e32 v64, v101, v102
	;; [unrolled: 1-line block ×5, first 2 shown]
	v_fmamk_f32 v27, v33, 0x3f737871, v31
	v_fmac_f32_e32 v31, 0xbf737871, v33
	v_add_f32_e32 v36, v36, v75
	v_fmamk_f32 v75, v68, 0x3f737871, v21
	v_fmac_f32_e32 v21, 0xbf737871, v68
	v_fmac_f32_e32 v28, 0x3f167918, v97
	;; [unrolled: 1-line block ×9, first 2 shown]
	v_fmamk_f32 v73, v34, 0xbf737871, v20
	v_fmac_f32_e32 v20, 0x3f737871, v34
	v_fmamk_f32 v74, v23, 0xbf737871, v71
	v_fmac_f32_e32 v71, 0x3f737871, v23
	v_add_f32_e32 v25, v25, v29
	v_fmac_f32_e32 v27, 0x3f167918, v34
	v_fmac_f32_e32 v31, 0xbf167918, v34
	v_add_f32_e32 v29, v36, v93
	v_fmac_f32_e32 v75, 0xbf167918, v23
	v_fmac_f32_e32 v21, 0x3f167918, v23
	v_add_f32_e32 v23, v26, v30
	v_add_f32_e32 v26, v67, v95
	v_fmac_f32_e32 v28, 0x3e9e377a, v63
	v_fmac_f32_e32 v39, 0x3e9e377a, v63
	;; [unrolled: 1-line block ×14, first 2 shown]
	v_add_f32_e32 v63, v25, v23
	v_add_f32_e32 v64, v29, v26
	v_sub_f32_e32 v24, v25, v23
	v_sub_f32_e32 v25, v29, v26
	v_mul_f32_e32 v23, 0x3f167918, v91
	v_mul_f32_e32 v29, 0x3f737871, v92
	;; [unrolled: 1-line block ×8, first 2 shown]
	v_fmac_f32_e32 v73, 0x3e9e377a, v35
	v_fmac_f32_e32 v20, 0x3e9e377a, v35
	;; [unrolled: 1-line block ×8, first 2 shown]
	v_fma_f32 v66, 0x3f737871, v66, -v26
	v_fma_f32 v69, 0x3f167918, v70, -v30
	v_fmac_f32_e32 v67, 0x3f4f1bbd, v91
	v_fmac_f32_e32 v68, 0x3e9e377a, v92
	v_fma_f32 v22, 0xbf737871, v22, -v32
	v_fma_f32 v70, 0xbf167918, v39, -v33
	v_add_f32_e32 v36, v27, v23
	v_add_f32_e32 v38, v73, v29
	;; [unrolled: 1-line block ×8, first 2 shown]
	v_sub_f32_e32 v26, v27, v23
	v_sub_f32_e32 v28, v73, v29
	;; [unrolled: 1-line block ×8, first 2 shown]
	ds_write_b64 v85, v[63:64]
	ds_write2_b64 v83, v[36:37], v[38:39] offset0:34 offset1:68
	ds_write2_b64 v83, v[32:33], v[34:35] offset0:102 offset1:136
	;; [unrolled: 1-line block ×4, first 2 shown]
	ds_write_b64 v83, v[20:21] offset:2448
	s_waitcnt lgkmcnt(0)
	s_barrier
	buffer_gl0_inv
	s_and_saveexec_b32 s1, vcc_lo
	s_cbranch_execz .LBB0_9
; %bb.8:
	s_add_u32 s2, s12, 0xaa0
	s_addc_u32 s3, s13, 0
	v_add_co_u32 v65, s0, s2, v78
	s_clause 0x6
	global_load_dwordx2 v[22:23], v78, s[2:3]
	global_load_dwordx2 v[111:112], v78, s[2:3] offset:160
	global_load_dwordx2 v[113:114], v78, s[2:3] offset:320
	;; [unrolled: 1-line block ×6, first 2 shown]
	v_add_co_ci_u32_e64 v66, null, s3, 0, s0
	v_add_co_u32 v65, s0, 0x800, v65
	v_or_b32_e32 v67, 0xa00, v78
	v_add_co_ci_u32_e64 v66, s0, 0, v66, s0
	s_clause 0x9
	global_load_dwordx2 v[123:124], v78, s[2:3] offset:1120
	global_load_dwordx2 v[125:126], v78, s[2:3] offset:1280
	;; [unrolled: 1-line block ×6, first 2 shown]
	global_load_dwordx2 v[135:136], v[65:66], off offset:32
	global_load_dwordx2 v[137:138], v[65:66], off offset:192
	;; [unrolled: 1-line block ×3, first 2 shown]
	global_load_dwordx2 v[141:142], v67, s[2:3]
	ds_read_b64 v[65:66], v85
	v_add_nc_u32_e32 v143, 0x800, v83
	s_waitcnt vmcnt(16) lgkmcnt(0)
	v_mul_f32_e32 v67, v66, v23
	v_mul_f32_e32 v68, v65, v23
	v_fma_f32 v67, v65, v22, -v67
	v_fmac_f32_e32 v68, v66, v22
	ds_write_b64 v85, v[67:68]
	ds_read2_b64 v[65:68], v83 offset0:20 offset1:40
	ds_read2_b64 v[69:72], v83 offset0:60 offset1:80
	;; [unrolled: 1-line block ×8, first 2 shown]
	s_waitcnt vmcnt(15) lgkmcnt(7)
	v_mul_f32_e32 v22, v66, v112
	v_mul_f32_e32 v23, v65, v112
	s_waitcnt vmcnt(14)
	v_mul_f32_e32 v144, v68, v114
	v_mul_f32_e32 v112, v67, v114
	s_waitcnt vmcnt(13) lgkmcnt(6)
	v_mul_f32_e32 v145, v70, v116
	v_mul_f32_e32 v114, v69, v116
	s_waitcnt vmcnt(12)
	v_mul_f32_e32 v146, v72, v118
	v_mul_f32_e32 v116, v71, v118
	;; [unrolled: 6-line block ×8, first 2 shown]
	v_fma_f32 v22, v65, v111, -v22
	v_fmac_f32_e32 v23, v66, v111
	v_fma_f32 v111, v67, v113, -v144
	v_fmac_f32_e32 v112, v68, v113
	;; [unrolled: 2-line block ×16, first 2 shown]
	ds_write2_b64 v83, v[22:23], v[111:112] offset0:20 offset1:40
	ds_write2_b64 v83, v[113:114], v[115:116] offset0:60 offset1:80
	;; [unrolled: 1-line block ×8, first 2 shown]
.LBB0_9:
	s_or_b32 exec_lo, exec_lo, s1
	s_waitcnt lgkmcnt(0)
	s_barrier
	buffer_gl0_inv
	s_and_saveexec_b32 s0, vcc_lo
	s_cbranch_execz .LBB0_11
; %bb.10:
	ds_read2_b64 v[20:23], v85 offset0:180 offset1:200
	v_add_nc_u32_e32 v0, 0x800, v85
	ds_read2_b64 v[41:44], v85 offset0:220 offset1:240
	ds_read2_b64 v[65:68], v0 offset0:4 offset1:24
	;; [unrolled: 1-line block ×3, first 2 shown]
	ds_read_b64 v[63:64], v85
	ds_read2_b64 v[36:39], v85 offset0:20 offset1:40
	ds_read2_b64 v[32:35], v85 offset0:60 offset1:80
	;; [unrolled: 1-line block ×4, first 2 shown]
	s_waitcnt lgkmcnt(7)
	v_mov_b32_e32 v47, v41
	v_mov_b32_e32 v48, v42
	;; [unrolled: 1-line block ×6, first 2 shown]
	s_waitcnt lgkmcnt(6)
	v_mov_b32_e32 v43, v65
	v_mov_b32_e32 v44, v66
	;; [unrolled: 1-line block ×4, first 2 shown]
.LBB0_11:
	s_or_b32 exec_lo, exec_lo, s0
	s_waitcnt lgkmcnt(0)
	s_barrier
	buffer_gl0_inv
	s_and_saveexec_b32 s0, vcc_lo
	s_cbranch_execz .LBB0_13
; %bb.12:
	v_add_f32_e32 v76, v3, v37
	v_sub_f32_e32 v96, v36, v2
	v_add_f32_e32 v210, v1, v39
	v_sub_f32_e32 v92, v38, v0
	v_add_f32_e32 v208, v42, v33
	v_mul_f32_e32 v110, 0xbf7ba420, v76
	v_sub_f32_e32 v93, v32, v41
	v_mul_f32_e32 v112, 0x3f6eb680, v210
	v_add_f32_e32 v203, v44, v35
	v_mul_f32_e32 v113, 0xbf59a7d5, v208
	v_fmamk_f32 v22, v96, 0x3e3c28d5, v110
	v_sub_f32_e32 v91, v34, v43
	v_fmamk_f32 v23, v92, 0xbeb8f4ab, v112
	v_add_f32_e32 v204, v46, v25
	v_mul_f32_e32 v114, 0x3f3d2fb0, v203
	v_add_f32_e32 v22, v64, v22
	v_fmamk_f32 v65, v93, 0x3f06c442, v113
	v_sub_f32_e32 v170, v37, v3
	v_sub_f32_e32 v94, v24, v45
	v_add_f32_e32 v75, v48, v27
	v_add_f32_e32 v22, v23, v22
	;; [unrolled: 1-line block ×3, first 2 shown]
	v_mul_f32_e32 v119, 0xbf1a4643, v204
	v_fmamk_f32 v23, v91, 0xbf2c7751, v114
	v_sub_f32_e32 v171, v39, v1
	v_add_f32_e32 v22, v65, v22
	v_mul_f32_e32 v118, 0xbe3c28d5, v170
	v_sub_f32_e32 v95, v26, v47
	v_mul_f32_e32 v116, 0x3ee437d1, v75
	v_fmamk_f32 v65, v94, 0x3f4c4adb, v119
	v_add_f32_e32 v22, v23, v22
	v_add_f32_e32 v99, v0, v38
	v_mul_f32_e32 v117, 0x3eb8f4ab, v171
	v_fmamk_f32 v66, v98, 0xbf7ba420, v118
	v_sub_f32_e32 v183, v33, v42
	v_fmamk_f32 v23, v95, 0xbf65296c, v116
	v_add_f32_e32 v22, v65, v22
	v_fmamk_f32 v65, v99, 0x3f6eb680, v117
	v_add_f32_e32 v66, v63, v66
	v_add_f32_e32 v101, v41, v32
	v_mul_f32_e32 v111, 0xbf06c442, v183
	v_sub_f32_e32 v190, v35, v44
	v_add_f32_e32 v193, v50, v29
	v_add_f32_e32 v22, v23, v22
	;; [unrolled: 1-line block ×3, first 2 shown]
	v_fmamk_f32 v65, v101, 0xbf59a7d5, v111
	v_add_f32_e32 v102, v43, v34
	v_mul_f32_e32 v107, 0x3f2c7751, v190
	v_sub_f32_e32 v191, v25, v46
	v_mul_f32_e32 v115, 0xbe8c1d8e, v193
	v_sub_f32_e32 v97, v28, v49
	v_add_f32_e32 v196, v21, v31
	v_add_f32_e32 v23, v65, v23
	v_fmamk_f32 v65, v102, 0x3f3d2fb0, v107
	v_add_f32_e32 v103, v45, v24
	v_mul_f32_e32 v108, 0xbf4c4adb, v191
	v_sub_f32_e32 v187, v27, v48
	v_fmamk_f32 v66, v97, 0x3f763a35, v115
	v_mul_f32_e32 v122, 0x3dbcf732, v196
	v_sub_f32_e32 v100, v30, v20
	v_add_f32_e32 v23, v65, v23
	v_fmamk_f32 v65, v103, 0xbf1a4643, v108
	v_add_f32_e32 v104, v47, v26
	v_mul_f32_e32 v109, 0x3f65296c, v187
	v_mul_f32_e32 v137, 0xbf59a7d5, v76
	v_add_f32_e32 v22, v66, v22
	v_fmamk_f32 v66, v100, 0xbf7ee86f, v122
	v_add_f32_e32 v65, v65, v23
	v_fmamk_f32 v67, v104, 0x3ee437d1, v109
	v_fmamk_f32 v68, v96, 0x3f06c442, v137
	v_mul_f32_e32 v123, 0x3ee437d1, v210
	v_add_f32_e32 v23, v66, v22
	v_sub_f32_e32 v194, v29, v50
	v_add_f32_e32 v22, v67, v65
	v_add_f32_e32 v65, v64, v68
	v_fmamk_f32 v66, v92, 0xbf65296c, v123
	v_mul_f32_e32 v124, 0x3dbcf732, v208
	v_add_f32_e32 v106, v49, v28
	v_mul_f32_e32 v120, 0xbf763a35, v194
	v_sub_f32_e32 v195, v31, v21
	v_add_f32_e32 v65, v66, v65
	v_fmamk_f32 v66, v93, 0x3f7ee86f, v124
	v_mul_f32_e32 v128, 0xbf1a4643, v203
	v_fmamk_f32 v67, v106, 0xbe8c1d8e, v120
	v_add_f32_e32 v105, v20, v30
	v_mul_f32_e32 v121, 0x3f7ee86f, v195
	v_add_f32_e32 v65, v66, v65
	v_fmamk_f32 v66, v91, 0xbf4c4adb, v128
	v_mul_f32_e32 v129, 0x3f6eb680, v204
	v_add_f32_e32 v22, v67, v22
	v_fmamk_f32 v67, v105, 0x3dbcf732, v121
	;; [unrolled: 3-line block ×91, first 2 shown]
	v_mul_f32_e32 v223, 0x3f3d2fb0, v210
	v_add_f32_e32 v37, v37, v64
	v_add_f32_e32 v225, v235, v225
	v_fmamk_f32 v234, v103, 0xbf59a7d5, v212
	v_mul_f32_e32 v210, 0x3f763a35, v187
	v_add_f32_e32 v235, v64, v224
	v_fmamk_f32 v236, v92, 0x3f2c7751, v223
	v_mul_f32_e32 v224, 0x3ee437d1, v208
	v_add_f32_e32 v37, v39, v37
	v_add_f32_e32 v39, v36, v63
	v_add_f32_e32 v234, v234, v225
	v_fmamk_f32 v237, v104, 0xbe8c1d8e, v210
	v_mul_f32_e32 v208, 0x3f65296c, v194
	v_add_f32_e32 v235, v236, v235
	v_fmamk_f32 v236, v93, 0x3f65296c, v224
	v_mul_f32_e32 v225, 0x3dbcf732, v203
	v_add_f32_e32 v37, v33, v37
	v_add_f32_e32 v38, v38, v39
	v_add_f32_e32 v234, v237, v234
	v_fmamk_f32 v237, v106, 0x3ee437d1, v208
	v_mul_f32_e32 v203, 0x3eb8f4ab, v195
	v_add_f32_e32 v235, v236, v235
	v_fmamk_f32 v236, v91, 0x3f7ee86f, v225
	v_mul_f32_e32 v204, 0xbe8c1d8e, v204
	v_add_f32_e32 v35, v35, v37
	v_add_f32_e32 v32, v32, v38
	v_add_f32_e32 v234, v237, v234
	v_fmamk_f32 v237, v105, 0x3f6eb680, v203
	v_add_f32_e32 v235, v236, v235
	v_fmamk_f32 v236, v94, 0x3f763a35, v204
	v_mul_f32_e32 v36, 0xbf1a4643, v75
	v_add_f32_e32 v25, v25, v35
	v_add_f32_e32 v32, v34, v32
	;; [unrolled: 1-line block ×4, first 2 shown]
	v_fmamk_f32 v39, v95, 0x3f4c4adb, v36
	v_mul_f32_e32 v33, 0xbf59a7d5, v193
	v_mul_f32_e32 v170, 0xbeb8f4ab, v170
	v_add_f32_e32 v25, v27, v25
	v_add_f32_e32 v27, v24, v32
	;; [unrolled: 1-line block ×3, first 2 shown]
	v_fmamk_f32 v38, v97, 0x3f06c442, v33
	v_fmamk_f32 v39, v98, 0x3f6eb680, v170
	v_mul_f32_e32 v171, 0xbf2c7751, v171
	v_add_f32_e32 v25, v29, v25
	v_add_f32_e32 v26, v26, v27
	v_add_f32_e32 v34, v38, v37
	v_add_f32_e32 v35, v63, v39
	v_fmamk_f32 v32, v99, 0x3f3d2fb0, v171
	v_mul_f32_e32 v37, 0xbf65296c, v183
	v_add_f32_e32 v25, v31, v25
	v_add_f32_e32 v26, v28, v26
	v_mul_f32_e32 v24, 0xbf7ba420, v196
	v_add_f32_e32 v27, v32, v35
	v_fmamk_f32 v29, v101, 0x3ee437d1, v37
	v_mul_f32_e32 v38, 0xbf7ee86f, v190
	v_add_f32_e32 v25, v21, v25
	v_add_f32_e32 v26, v30, v26
	v_fmamk_f32 v28, v100, 0x3e3c28d5, v24
	v_add_f32_e32 v27, v29, v27
	v_fmamk_f32 v29, v102, 0x3dbcf732, v38
	v_mul_f32_e32 v39, 0xbf763a35, v191
	v_add_f32_e32 v25, v50, v25
	v_add_f32_e32 v20, v20, v26
	v_fmac_f32_e32 v110, 0xbe3c28d5, v96
	v_add_f32_e32 v21, v28, v34
	v_add_f32_e32 v27, v29, v27
	v_fmamk_f32 v26, v103, 0xbe8c1d8e, v39
	v_mul_f32_e32 v50, 0xbf4c4adb, v187
	v_add_f32_e32 v25, v48, v25
	v_add_f32_e32 v20, v49, v20
	;; [unrolled: 1-line block ×3, first 2 shown]
	v_fmac_f32_e32 v112, 0x3eb8f4ab, v92
	v_add_f32_e32 v26, v26, v27
	v_fmamk_f32 v27, v104, 0xbf1a4643, v50
	v_add_f32_e32 v25, v46, v25
	v_add_f32_e32 v20, v47, v20
	;; [unrolled: 1-line block ×3, first 2 shown]
	v_fmac_f32_e32 v113, 0xbf06c442, v93
	v_add_f32_e32 v26, v27, v26
	v_mul_f32_e32 v46, 0xbf06c442, v194
	v_add_f32_e32 v25, v44, v25
	v_add_f32_e32 v20, v45, v20
	;; [unrolled: 1-line block ×3, first 2 shown]
	v_fmac_f32_e32 v114, 0x3f2c7751, v91
	v_fmamk_f32 v28, v106, 0xbf59a7d5, v46
	v_mul_f32_e32 v44, 0xbe3c28d5, v195
	v_add_f32_e32 v25, v42, v25
	v_add_f32_e32 v20, v43, v20
	;; [unrolled: 1-line block ×3, first 2 shown]
	v_fmac_f32_e32 v119, 0xbf4c4adb, v94
	v_add_f32_e32 v26, v28, v26
	v_fmamk_f32 v28, v105, 0xbf7ba420, v44
	v_add_f32_e32 v1, v1, v25
	v_add_f32_e32 v25, v41, v20
	;; [unrolled: 1-line block ×3, first 2 shown]
	v_fmac_f32_e32 v116, 0x3f65296c, v95
	v_add_f32_e32 v20, v28, v26
	v_fma_f32 v26, 0xbf7ba420, v98, -v118
	v_add_f32_e32 v1, v3, v1
	v_add_f32_e32 v0, v0, v25
	;; [unrolled: 1-line block ×3, first 2 shown]
	v_fmac_f32_e32 v115, 0xbf763a35, v97
	v_add_f32_e32 v25, v63, v26
	v_fma_f32 v26, 0x3f6eb680, v99, -v117
	v_add_f32_e32 v0, v2, v0
	v_fmac_f32_e32 v137, 0xbf06c442, v96
	v_add_f32_e32 v2, v115, v3
	v_fmac_f32_e32 v122, 0x3f7ee86f, v100
	v_add_f32_e32 v25, v26, v25
	v_fma_f32 v26, 0xbf59a7d5, v101, -v111
	v_add_f32_e32 v27, v64, v137
	v_fmac_f32_e32 v123, 0x3f65296c, v92
	v_add_f32_e32 v3, v122, v2
	v_fma_f32 v2, 0xbf59a7d5, v98, -v141
	v_add_f32_e32 v25, v26, v25
	v_fma_f32 v26, 0x3f3d2fb0, v102, -v107
	v_add_f32_e32 v27, v123, v27
	v_fmac_f32_e32 v124, 0xbf7ee86f, v93
	v_add_f32_e32 v2, v63, v2
	v_fma_f32 v28, 0x3ee437d1, v99, -v142
	;; [unrolled: 6-line block ×6, first 2 shown]
	v_fmac_f32_e32 v139, 0xbf4c4adb, v96
	v_add_f32_e32 v2, v26, v25
	v_add_f32_e32 v25, v130, v27
	v_fmac_f32_e32 v131, 0xbf763a35, v100
	v_add_f32_e32 v27, v29, v28
	v_fma_f32 v28, 0x3f3d2fb0, v106, -v151
	v_add_f32_e32 v29, v64, v139
	v_fmac_f32_e32 v136, 0x3f763a35, v92
	v_add_f32_e32 v26, v131, v25
	v_fma_f32 v25, 0xbf1a4643, v98, -v153
	v_add_f32_e32 v27, v28, v27
	v_fma_f32 v28, 0xbe8c1d8e, v105, -v138
	v_add_f32_e32 v29, v136, v29
	v_fmac_f32_e32 v125, 0xbeb8f4ab, v93
	v_add_f32_e32 v30, v63, v25
	v_fma_f32 v31, 0xbe8c1d8e, v99, -v155
	v_add_f32_e32 v25, v28, v27
	v_fmac_f32_e32 v173, 0xbf763a35, v96
	v_add_f32_e32 v27, v125, v29
	v_fmac_f32_e32 v126, 0xbf06c442, v91
	v_add_f32_e32 v28, v31, v30
	v_fma_f32 v29, 0x3f6eb680, v101, -v144
	v_add_f32_e32 v30, v64, v173
	v_fmac_f32_e32 v174, 0x3f06c442, v92
	;; [unrolled: 6-line block ×6, first 2 shown]
	v_add_f32_e32 v28, v134, v27
	v_fma_f32 v27, 0xbe8c1d8e, v98, -v178
	v_add_f32_e32 v29, v31, v29
	v_fma_f32 v31, 0x3ee437d1, v105, -v147
	v_add_f32_e32 v30, v179, v30
	v_fmac_f32_e32 v159, 0xbeb8f4ab, v97
	v_add_f32_e32 v32, v63, v27
	v_fma_f32 v34, 0xbf59a7d5, v99, -v180
	v_fmac_f32_e32 v192, 0xbf7ee86f, v96
	v_add_f32_e32 v27, v31, v29
	v_add_f32_e32 v29, v159, v30
	v_fmac_f32_e32 v160, 0xbf4c4adb, v100
	v_add_f32_e32 v31, v34, v32
	v_fma_f32 v32, 0x3f3d2fb0, v101, -v161
	v_add_f32_e32 v34, v64, v192
	v_fmac_f32_e32 v164, 0xbe3c28d5, v92
	v_add_f32_e32 v30, v160, v29
	v_fma_f32 v29, 0x3dbcf732, v98, -v201
	v_add_f32_e32 v31, v32, v31
	v_fma_f32 v32, 0x3ee437d1, v102, -v140
	v_add_f32_e32 v34, v164, v34
	v_fmac_f32_e32 v165, 0x3f763a35, v93
	v_add_f32_e32 v29, v63, v29
	v_fma_f32 v35, 0xbf7ba420, v99, -v202
	;; [unrolled: 6-line block ×6, first 2 shown]
	v_add_f32_e32 v29, v32, v31
	v_fmac_f32_e32 v200, 0xbf65296c, v96
	v_add_f32_e32 v31, v181, v34
	v_fmac_f32_e32 v182, 0x3f2c7751, v100
	v_add_f32_e32 v34, v41, v35
	v_fma_f32 v35, 0xbf1a4643, v106, -v213
	v_add_f32_e32 v41, v64, v200
	v_fmac_f32_e32 v189, 0xbf4c4adb, v92
	v_add_f32_e32 v32, v182, v31
	v_fma_f32 v31, 0x3ee437d1, v98, -v214
	v_add_f32_e32 v34, v35, v34
	v_fma_f32 v35, 0x3f3d2fb0, v105, -v197
	v_add_f32_e32 v41, v189, v41
	v_fmac_f32_e32 v166, 0x3e3c28d5, v93
	v_add_f32_e32 v42, v63, v31
	v_fma_f32 v43, 0xbf1a4643, v99, -v215
	v_fmac_f32_e32 v226, 0xbf2c7751, v96
	v_add_f32_e32 v31, v35, v34
	v_add_f32_e32 v34, v166, v41
	v_fmac_f32_e32 v167, 0x3f763a35, v91
	v_add_f32_e32 v35, v43, v42
	v_fma_f32 v41, 0xbf7ba420, v101, -v206
	v_add_f32_e32 v42, v64, v226
	v_fmac_f32_e32 v227, 0xbf7ee86f, v92
	v_add_f32_e32 v34, v167, v34
	v_fmac_f32_e32 v168, 0x3f2c7751, v94
	v_add_f32_e32 v35, v41, v35
	v_fma_f32 v41, 0xbe8c1d8e, v102, -v207
	v_add_f32_e32 v42, v227, v42
	v_fmac_f32_e32 v228, 0xbf4c4adb, v93
	;; [unrolled: 6-line block ×5, first 2 shown]
	v_add_f32_e32 v35, v186, v34
	v_fma_f32 v34, 0x3f3d2fb0, v98, -v231
	v_add_f32_e32 v41, v43, v41
	v_fma_f32 v43, 0xbf59a7d5, v105, -v211
	v_add_f32_e32 v42, v232, v42
	v_fmac_f32_e32 v219, 0x3f65296c, v97
	v_add_f32_e32 v45, v63, v34
	v_fma_f32 v47, 0x3dbcf732, v99, -v233
	v_add_f32_e32 v34, v43, v41
	v_fmac_f32_e32 v221, 0xbeb8f4ab, v96
	v_add_f32_e32 v41, v219, v42
	v_fma_f32 v42, 0x3f6eb680, v98, -v170
	v_add_f32_e32 v43, v47, v45
	v_fma_f32 v45, 0xbf1a4643, v101, -v198
	v_add_f32_e32 v47, v64, v221
	v_fmac_f32_e32 v223, 0xbf2c7751, v92
	v_add_f32_e32 v42, v63, v42
	v_fma_f32 v48, 0x3f3d2fb0, v99, -v171
	;; [unrolled: 6-line block ×5, first 2 shown]
	v_add_f32_e32 v39, v43, v42
	v_fmac_f32_e32 v36, 0xbf4c4adb, v95
	v_add_f32_e32 v43, v204, v45
	v_fma_f32 v42, 0x3ee437d1, v106, -v208
	v_add_f32_e32 v37, v38, v37
	v_fma_f32 v38, 0xbf1a4643, v104, -v50
	v_fmac_f32_e32 v33, 0xbf06c442, v97
	v_add_f32_e32 v36, v36, v43
	v_and_b32_e32 v43, 0xffff, v82
	v_fmac_f32_e32 v148, 0x3eb8f4ab, v100
	v_add_f32_e32 v37, v38, v37
	v_fma_f32 v38, 0xbf59a7d5, v106, -v46
	v_add_f32_e32 v39, v42, v39
	v_fma_f32 v42, 0x3f6eb680, v105, -v203
	v_add_f32_e32 v33, v33, v36
	v_fmac_f32_e32 v24, 0xbe3c28d5, v100
	v_add_f32_e32 v38, v38, v37
	v_fma_f32 v44, 0xbf7ba420, v105, -v44
	v_lshl_add_u32 v43, v43, 3, v81
	v_add_f32_e32 v37, v148, v41
	v_add_f32_e32 v36, v42, v39
	;; [unrolled: 1-line block ×4, first 2 shown]
	ds_write2_b64 v43, v[0:1], v[20:21] offset1:1
	ds_write2_b64 v43, v[75:76], v[73:74] offset0:2 offset1:3
	ds_write2_b64 v43, v[71:72], v[69:70] offset0:4 offset1:5
	;; [unrolled: 1-line block ×7, first 2 shown]
	ds_write_b64 v43, v[38:39] offset:128
.LBB0_13:
	s_or_b32 exec_lo, exec_lo, s0
	s_waitcnt lgkmcnt(0)
	s_barrier
	buffer_gl0_inv
	ds_read2_b64 v[0:3], v84 offset0:136 offset1:170
	ds_read2_b64 v[20:23], v84 offset0:204 offset1:238
	v_add_nc_u32_e32 v38, 0x800, v84
	ds_read2_b64 v[24:27], v38 offset0:16 offset1:50
	ds_read2_b64 v[28:31], v84 offset1:34
	ds_read2_b64 v[32:35], v84 offset0:68 offset1:102
	s_waitcnt lgkmcnt(0)
	s_barrier
	buffer_gl0_inv
	v_mul_f32_e32 v36, v58, v3
	v_mul_f32_e32 v37, v58, v2
	;; [unrolled: 1-line block ×6, first 2 shown]
	v_fmac_f32_e32 v36, v57, v2
	v_fma_f32 v3, v57, v3, -v37
	v_fmac_f32_e32 v39, v59, v20
	v_fma_f32 v21, v59, v21, -v41
	v_mul_f32_e32 v37, v54, v25
	v_mul_f32_e32 v2, v54, v24
	;; [unrolled: 1-line block ×4, first 2 shown]
	v_fmac_f32_e32 v42, v55, v22
	v_fma_f32 v23, v55, v23, -v43
	v_fmac_f32_e32 v37, v53, v24
	v_fma_f32 v43, v53, v25, -v2
	v_fma_f32 v44, v51, v27, -v20
	v_sub_f32_e32 v20, v30, v39
	v_sub_f32_e32 v21, v31, v21
	v_fmac_f32_e32 v41, v51, v26
	v_sub_f32_e32 v2, v28, v36
	v_sub_f32_e32 v3, v29, v3
	;; [unrolled: 1-line block ×4, first 2 shown]
	v_fma_f32 v26, v30, 2.0, -v20
	v_fma_f32 v27, v31, 2.0, -v21
	v_sub_f32_e32 v30, v34, v37
	v_sub_f32_e32 v31, v35, v43
	;; [unrolled: 1-line block ×4, first 2 shown]
	v_fma_f32 v24, v28, 2.0, -v2
	v_fma_f32 v25, v29, 2.0, -v3
	;; [unrolled: 1-line block ×8, first 2 shown]
	ds_write2_b64 v88, v[24:25], v[2:3] offset1:17
	ds_write2_b64 v90, v[26:27], v[20:21] offset1:17
	;; [unrolled: 1-line block ×5, first 2 shown]
	s_waitcnt lgkmcnt(0)
	s_barrier
	buffer_gl0_inv
	ds_read2_b64 v[0:3], v84 offset1:34
	ds_read2_b64 v[20:23], v84 offset0:68 offset1:102
	ds_read2_b64 v[24:27], v84 offset0:136 offset1:170
	;; [unrolled: 1-line block ×4, first 2 shown]
	s_waitcnt lgkmcnt(4)
	v_mul_f32_e32 v36, v17, v3
	v_mul_f32_e32 v17, v17, v2
	s_waitcnt lgkmcnt(3)
	v_mul_f32_e32 v37, v19, v21
	v_mul_f32_e32 v19, v19, v20
	v_fmac_f32_e32 v36, v16, v2
	v_fma_f32 v3, v16, v3, -v17
	v_mul_f32_e32 v2, v13, v23
	v_mul_f32_e32 v13, v13, v22
	s_waitcnt lgkmcnt(2)
	v_mul_f32_e32 v17, v15, v25
	v_mul_f32_e32 v15, v15, v24
	v_fmac_f32_e32 v37, v18, v20
	v_fmac_f32_e32 v2, v12, v22
	v_fma_f32 v12, v12, v23, -v13
	v_mul_f32_e32 v13, v9, v27
	v_fmac_f32_e32 v17, v14, v24
	v_fma_f32 v14, v14, v25, -v15
	v_mul_f32_e32 v9, v9, v26
	s_waitcnt lgkmcnt(1)
	v_mul_f32_e32 v15, v11, v29
	v_fmac_f32_e32 v13, v8, v26
	v_mul_f32_e32 v11, v11, v28
	v_fma_f32 v16, v18, v21, -v19
	v_fma_f32 v8, v8, v27, -v9
	v_fmac_f32_e32 v15, v10, v28
	s_waitcnt lgkmcnt(0)
	v_mul_f32_e32 v9, v7, v32
	v_mul_f32_e32 v7, v7, v33
	;; [unrolled: 1-line block ×3, first 2 shown]
	v_fma_f32 v10, v10, v29, -v11
	v_mul_f32_e32 v5, v5, v30
	v_add_f32_e32 v11, v17, v15
	v_fma_f32 v9, v6, v33, -v9
	v_add_f32_e32 v20, v0, v37
	v_fmac_f32_e32 v7, v6, v32
	v_fmac_f32_e32 v18, v4, v30
	v_fma_f32 v11, -0.5, v11, v0
	v_sub_f32_e32 v21, v16, v9
	v_fma_f32 v4, v4, v31, -v5
	v_add_f32_e32 v5, v20, v17
	v_sub_f32_e32 v22, v37, v17
	v_sub_f32_e32 v23, v7, v15
	v_add_f32_e32 v24, v37, v7
	v_fmamk_f32 v20, v21, 0xbf737871, v11
	v_sub_f32_e32 v6, v14, v10
	v_mul_f32_e32 v25, v62, v34
	v_add_f32_e32 v5, v5, v15
	v_add_f32_e32 v22, v22, v23
	v_fma_f32 v23, -0.5, v24, v0
	v_fmac_f32_e32 v11, 0x3f737871, v21
	v_add_f32_e32 v27, v1, v16
	v_fmac_f32_e32 v20, 0xbf167918, v6
	v_fma_f32 v0, v61, v35, -v25
	v_add_f32_e32 v24, v5, v7
	v_fmamk_f32 v25, v6, 0x3f737871, v23
	v_sub_f32_e32 v5, v17, v37
	v_sub_f32_e32 v26, v15, v7
	v_fmac_f32_e32 v11, 0x3f167918, v6
	v_add_f32_e32 v28, v14, v10
	v_fmac_f32_e32 v23, 0xbf737871, v6
	v_add_f32_e32 v6, v27, v14
	v_fmac_f32_e32 v20, 0x3e9e377a, v22
	v_fmac_f32_e32 v25, 0xbf167918, v21
	v_add_f32_e32 v5, v5, v26
	v_fma_f32 v26, -0.5, v28, v1
	v_sub_f32_e32 v7, v37, v7
	v_fmac_f32_e32 v11, 0x3e9e377a, v22
	v_fmac_f32_e32 v23, 0x3f167918, v21
	v_add_f32_e32 v6, v6, v10
	v_add_f32_e32 v22, v16, v9
	v_mul_f32_e32 v19, v62, v35
	v_fmac_f32_e32 v25, 0x3e9e377a, v5
	v_fmamk_f32 v21, v7, 0x3f737871, v26
	v_sub_f32_e32 v15, v17, v15
	v_sub_f32_e32 v17, v16, v14
	;; [unrolled: 1-line block ×3, first 2 shown]
	v_fmac_f32_e32 v23, 0x3e9e377a, v5
	v_fma_f32 v22, -0.5, v22, v1
	v_add_f32_e32 v28, v6, v9
	v_fmac_f32_e32 v26, 0xbf737871, v7
	v_sub_f32_e32 v5, v14, v16
	v_sub_f32_e32 v6, v10, v9
	v_add_f32_e32 v9, v36, v2
	v_fmac_f32_e32 v19, v61, v34
	v_fmac_f32_e32 v21, 0x3f167918, v15
	v_add_f32_e32 v1, v17, v27
	v_fmamk_f32 v17, v15, 0xbf737871, v22
	v_fmac_f32_e32 v26, 0xbf167918, v15
	v_add_f32_e32 v5, v5, v6
	v_fmac_f32_e32 v22, 0x3f737871, v15
	v_add_f32_e32 v6, v9, v13
	v_add_f32_e32 v9, v13, v18
	v_fmac_f32_e32 v21, 0x3e9e377a, v1
	v_fmac_f32_e32 v17, 0x3f167918, v7
	;; [unrolled: 1-line block ×4, first 2 shown]
	v_add_f32_e32 v1, v6, v18
	v_fma_f32 v7, -0.5, v9, v36
	v_add_f32_e32 v6, v2, v19
	v_sub_f32_e32 v9, v12, v0
	v_fmac_f32_e32 v17, 0x3e9e377a, v5
	v_fmac_f32_e32 v22, 0x3e9e377a, v5
	v_add_f32_e32 v10, v1, v19
	v_sub_f32_e32 v1, v8, v4
	v_fmac_f32_e32 v36, -0.5, v6
	v_fmamk_f32 v5, v9, 0xbf737871, v7
	v_sub_f32_e32 v6, v2, v13
	v_sub_f32_e32 v14, v19, v18
	v_fmac_f32_e32 v7, 0x3f737871, v9
	v_fmamk_f32 v15, v1, 0x3f737871, v36
	v_fmac_f32_e32 v5, 0xbf167918, v1
	v_sub_f32_e32 v16, v13, v2
	v_add_f32_e32 v6, v6, v14
	v_fmac_f32_e32 v7, 0x3f167918, v1
	v_sub_f32_e32 v27, v18, v19
	v_fmac_f32_e32 v36, 0xbf737871, v1
	v_add_f32_e32 v1, v8, v4
	v_fmac_f32_e32 v5, 0x3e9e377a, v6
	v_fmac_f32_e32 v7, 0x3e9e377a, v6
	v_add_f32_e32 v6, v12, v0
	v_fmac_f32_e32 v15, 0xbf167918, v9
	v_add_f32_e32 v14, v16, v27
	v_fmac_f32_e32 v36, 0x3f167918, v9
	v_fma_f32 v1, -0.5, v1, v3
	v_sub_f32_e32 v2, v2, v19
	v_add_f32_e32 v9, v3, v12
	v_sub_f32_e32 v13, v13, v18
	v_fmac_f32_e32 v3, -0.5, v6
	v_fmac_f32_e32 v15, 0x3e9e377a, v14
	v_fmac_f32_e32 v36, 0x3e9e377a, v14
	v_fmamk_f32 v14, v2, 0x3f737871, v1
	v_sub_f32_e32 v6, v12, v8
	v_sub_f32_e32 v16, v0, v4
	v_fmamk_f32 v18, v13, 0xbf737871, v3
	v_sub_f32_e32 v12, v8, v12
	v_sub_f32_e32 v19, v4, v0
	v_fmac_f32_e32 v3, 0x3f737871, v13
	v_fmac_f32_e32 v1, 0xbf737871, v2
	;; [unrolled: 1-line block ×3, first 2 shown]
	v_add_f32_e32 v6, v6, v16
	v_fmac_f32_e32 v18, 0x3f167918, v2
	v_add_f32_e32 v12, v12, v19
	v_fmac_f32_e32 v3, 0xbf167918, v2
	v_fmac_f32_e32 v1, 0xbf167918, v13
	v_add_f32_e32 v2, v9, v8
	v_fmac_f32_e32 v14, 0x3e9e377a, v6
	v_fmac_f32_e32 v18, 0x3e9e377a, v12
	;; [unrolled: 1-line block ×4, first 2 shown]
	v_add_f32_e32 v2, v2, v4
	v_mul_f32_e32 v12, 0xbf167918, v14
	v_mul_f32_e32 v13, 0xbf737871, v18
	;; [unrolled: 1-line block ×8, first 2 shown]
	v_add_f32_e32 v19, v2, v0
	v_fmac_f32_e32 v12, 0x3f4f1bbd, v5
	v_fmac_f32_e32 v13, 0x3e9e377a, v15
	v_fmac_f32_e32 v29, 0x3f167918, v5
	v_fmac_f32_e32 v30, 0x3f737871, v15
	v_fmac_f32_e32 v16, 0xbe9e377a, v36
	v_fmac_f32_e32 v27, 0xbf4f1bbd, v7
	v_fmac_f32_e32 v31, 0x3f737871, v36
	v_fmac_f32_e32 v32, 0x3f167918, v7
	v_add_f32_e32 v0, v24, v10
	v_add_f32_e32 v1, v28, v19
	v_add_f32_e32 v2, v20, v12
	v_add_f32_e32 v4, v25, v13
	v_add_f32_e32 v3, v21, v29
	v_add_f32_e32 v5, v17, v30
	v_add_f32_e32 v6, v23, v16
	v_add_f32_e32 v8, v11, v27
	v_add_f32_e32 v7, v22, v31
	v_add_f32_e32 v9, v26, v32
	v_sub_f32_e32 v10, v24, v10
	v_sub_f32_e32 v12, v20, v12
	;; [unrolled: 1-line block ×9, first 2 shown]
	v_add_nc_u32_e32 v20, 0x400, v83
	v_sub_f32_e32 v19, v26, v32
	ds_write_b64 v85, v[0:1]
	ds_write2_b64 v83, v[2:3], v[4:5] offset0:34 offset1:68
	ds_write2_b64 v83, v[6:7], v[8:9] offset0:102 offset1:136
	;; [unrolled: 1-line block ×4, first 2 shown]
	ds_write_b64 v83, v[18:19] offset:2448
	s_waitcnt lgkmcnt(0)
	s_barrier
	buffer_gl0_inv
	s_and_b32 exec_lo, exec_lo, vcc_lo
	s_cbranch_execz .LBB0_15
; %bb.14:
	global_load_dwordx2 v[0:1], v78, s[12:13]
	ds_read_b64 v[2:3], v85
	s_mov_b32 s0, 0x18181818
	s_mov_b32 s1, 0x3f681818
	v_mad_u64_u32 v[6:7], null, s4, v80, 0
	s_mul_i32 s2, s5, 0xa0
	s_mul_i32 s3, s4, 0xa0
	v_add_nc_u32_e32 v12, 0x800, v83
	s_waitcnt vmcnt(0) lgkmcnt(0)
	v_mul_f32_e32 v4, v3, v1
	v_mul_f32_e32 v1, v2, v1
	v_fmac_f32_e32 v4, v2, v0
	v_fma_f32 v2, v0, v3, -v1
	v_cvt_f64_f32_e32 v[0:1], v4
	v_cvt_f64_f32_e32 v[2:3], v2
	v_mad_u64_u32 v[4:5], null, s6, v40, 0
	s_mul_hi_u32 s6, s4, 0xa0
	s_add_i32 s2, s6, s2
	v_mad_u64_u32 v[8:9], null, s7, v40, v[5:6]
	v_mad_u64_u32 v[9:10], null, s5, v80, v[7:8]
	v_mov_b32_e32 v5, v8
	v_mul_f64 v[0:1], v[0:1], s[0:1]
	v_mul_f64 v[2:3], v[2:3], s[0:1]
	v_mov_b32_e32 v7, v9
	v_cvt_f32_f64_e32 v0, v[0:1]
	v_cvt_f32_f64_e32 v1, v[2:3]
	v_lshlrev_b64 v[2:3], 3, v[4:5]
	v_lshlrev_b64 v[4:5], 3, v[6:7]
	v_add_co_u32 v10, vcc_lo, s14, v2
	v_add_co_ci_u32_e32 v11, vcc_lo, s15, v3, vcc_lo
	v_add_co_u32 v4, vcc_lo, v10, v4
	v_add_co_ci_u32_e32 v5, vcc_lo, v11, v5, vcc_lo
	global_store_dwordx2 v[4:5], v[0:1], off
	global_load_dwordx2 v[6:7], v78, s[12:13] offset:160
	ds_read2_b64 v[0:3], v83 offset0:20 offset1:40
	v_add_co_u32 v4, vcc_lo, v4, s3
	v_add_co_ci_u32_e32 v5, vcc_lo, s2, v5, vcc_lo
	s_waitcnt vmcnt(0) lgkmcnt(0)
	v_mul_f32_e32 v8, v1, v7
	v_mul_f32_e32 v7, v0, v7
	v_fmac_f32_e32 v8, v0, v6
	v_fma_f32 v6, v6, v1, -v7
	v_cvt_f64_f32_e32 v[0:1], v8
	v_cvt_f64_f32_e32 v[6:7], v6
	v_mul_f64 v[0:1], v[0:1], s[0:1]
	v_mul_f64 v[6:7], v[6:7], s[0:1]
	v_cvt_f32_f64_e32 v0, v[0:1]
	v_cvt_f32_f64_e32 v1, v[6:7]
	global_store_dwordx2 v[4:5], v[0:1], off
	global_load_dwordx2 v[0:1], v78, s[12:13] offset:320
	v_add_co_u32 v4, vcc_lo, v4, s3
	v_add_co_ci_u32_e32 v5, vcc_lo, s2, v5, vcc_lo
	s_waitcnt vmcnt(0)
	v_mul_f32_e32 v6, v3, v1
	v_mul_f32_e32 v1, v2, v1
	v_fmac_f32_e32 v6, v2, v0
	v_fma_f32 v2, v0, v3, -v1
	v_cvt_f64_f32_e32 v[0:1], v6
	v_cvt_f64_f32_e32 v[2:3], v2
	v_mul_f64 v[0:1], v[0:1], s[0:1]
	v_mul_f64 v[2:3], v[2:3], s[0:1]
	v_cvt_f32_f64_e32 v0, v[0:1]
	v_cvt_f32_f64_e32 v1, v[2:3]
	global_store_dwordx2 v[4:5], v[0:1], off
	global_load_dwordx2 v[6:7], v78, s[12:13] offset:480
	ds_read2_b64 v[0:3], v83 offset0:60 offset1:80
	v_add_co_u32 v4, vcc_lo, v4, s3
	v_add_co_ci_u32_e32 v5, vcc_lo, s2, v5, vcc_lo
	s_waitcnt vmcnt(0) lgkmcnt(0)
	v_mul_f32_e32 v8, v1, v7
	v_mul_f32_e32 v7, v0, v7
	v_fmac_f32_e32 v8, v0, v6
	v_fma_f32 v6, v6, v1, -v7
	v_cvt_f64_f32_e32 v[0:1], v8
	v_cvt_f64_f32_e32 v[6:7], v6
	v_mul_f64 v[0:1], v[0:1], s[0:1]
	v_mul_f64 v[6:7], v[6:7], s[0:1]
	v_cvt_f32_f64_e32 v0, v[0:1]
	v_cvt_f32_f64_e32 v1, v[6:7]
	global_store_dwordx2 v[4:5], v[0:1], off
	global_load_dwordx2 v[0:1], v78, s[12:13] offset:640
	v_add_co_u32 v4, vcc_lo, v4, s3
	v_add_co_ci_u32_e32 v5, vcc_lo, s2, v5, vcc_lo
	s_waitcnt vmcnt(0)
	v_mul_f32_e32 v6, v3, v1
	v_mul_f32_e32 v1, v2, v1
	v_fmac_f32_e32 v6, v2, v0
	v_fma_f32 v2, v0, v3, -v1
	v_cvt_f64_f32_e32 v[0:1], v6
	v_cvt_f64_f32_e32 v[2:3], v2
	v_mul_f64 v[0:1], v[0:1], s[0:1]
	v_mul_f64 v[2:3], v[2:3], s[0:1]
	v_cvt_f32_f64_e32 v0, v[0:1]
	v_cvt_f32_f64_e32 v1, v[2:3]
	;; [unrolled: 31-line block ×3, first 2 shown]
	global_store_dwordx2 v[4:5], v[0:1], off
	global_load_dwordx2 v[6:7], v78, s[12:13] offset:1120
	ds_read2_b64 v[0:3], v83 offset0:140 offset1:160
	v_add_co_u32 v4, vcc_lo, v4, s3
	v_add_co_ci_u32_e32 v5, vcc_lo, s2, v5, vcc_lo
	s_waitcnt vmcnt(0) lgkmcnt(0)
	v_mul_f32_e32 v8, v1, v7
	v_mul_f32_e32 v7, v0, v7
	v_fmac_f32_e32 v8, v0, v6
	v_fma_f32 v6, v6, v1, -v7
	v_cvt_f64_f32_e32 v[0:1], v8
	v_cvt_f64_f32_e32 v[6:7], v6
	v_mul_f64 v[0:1], v[0:1], s[0:1]
	v_mul_f64 v[6:7], v[6:7], s[0:1]
	v_cvt_f32_f64_e32 v0, v[0:1]
	v_cvt_f32_f64_e32 v1, v[6:7]
	global_store_dwordx2 v[4:5], v[0:1], off
	global_load_dwordx2 v[0:1], v78, s[12:13] offset:1280
	v_mad_u64_u32 v[4:5], null, 0x140, s4, v[4:5]
	s_waitcnt vmcnt(0)
	v_mul_f32_e32 v6, v3, v1
	v_mul_f32_e32 v1, v2, v1
	v_fmac_f32_e32 v6, v2, v0
	v_fma_f32 v2, v0, v3, -v1
	v_cvt_f64_f32_e32 v[0:1], v6
	v_cvt_f64_f32_e32 v[2:3], v2
	v_mad_u64_u32 v[6:7], null, s4, v79, 0
	v_mad_u64_u32 v[7:8], null, s5, v79, v[7:8]
	v_mul_f64 v[0:1], v[0:1], s[0:1]
	v_mul_f64 v[2:3], v[2:3], s[0:1]
	v_cvt_f32_f64_e32 v0, v[0:1]
	v_cvt_f32_f64_e32 v1, v[2:3]
	v_lshlrev_b64 v[2:3], 3, v[6:7]
	v_add_co_u32 v2, vcc_lo, v10, v2
	v_add_co_ci_u32_e32 v3, vcc_lo, v11, v3, vcc_lo
	global_store_dwordx2 v[2:3], v[0:1], off
	global_load_dwordx2 v[6:7], v78, s[12:13] offset:1440
	ds_read2_b64 v[0:3], v83 offset0:180 offset1:200
	s_waitcnt vmcnt(0) lgkmcnt(0)
	v_mul_f32_e32 v8, v1, v7
	v_mul_f32_e32 v7, v0, v7
	v_fmac_f32_e32 v8, v0, v6
	v_fma_f32 v6, v6, v1, -v7
	v_cvt_f64_f32_e32 v[0:1], v8
	v_cvt_f64_f32_e32 v[6:7], v6
	v_mul_f64 v[0:1], v[0:1], s[0:1]
	v_mul_f64 v[6:7], v[6:7], s[0:1]
	v_cvt_f32_f64_e32 v0, v[0:1]
	v_cvt_f32_f64_e32 v1, v[6:7]
	v_mad_u64_u32 v[5:6], null, 0x140, s5, v[5:6]
	global_store_dwordx2 v[4:5], v[0:1], off
	global_load_dwordx2 v[0:1], v78, s[12:13] offset:1600
	v_add_co_u32 v4, vcc_lo, v4, s3
	v_add_co_ci_u32_e32 v5, vcc_lo, s2, v5, vcc_lo
	s_waitcnt vmcnt(0)
	v_mul_f32_e32 v6, v3, v1
	v_mul_f32_e32 v1, v2, v1
	v_fmac_f32_e32 v6, v2, v0
	v_fma_f32 v2, v0, v3, -v1
	v_cvt_f64_f32_e32 v[0:1], v6
	v_cvt_f64_f32_e32 v[2:3], v2
	v_mul_f64 v[0:1], v[0:1], s[0:1]
	v_mul_f64 v[2:3], v[2:3], s[0:1]
	v_cvt_f32_f64_e32 v0, v[0:1]
	v_cvt_f32_f64_e32 v1, v[2:3]
	global_store_dwordx2 v[4:5], v[0:1], off
	global_load_dwordx2 v[6:7], v78, s[12:13] offset:1760
	ds_read2_b64 v[0:3], v83 offset0:220 offset1:240
	v_add_co_u32 v4, vcc_lo, v4, s3
	v_add_co_ci_u32_e32 v5, vcc_lo, s2, v5, vcc_lo
	s_waitcnt vmcnt(0) lgkmcnt(0)
	v_mul_f32_e32 v8, v1, v7
	v_mul_f32_e32 v7, v0, v7
	v_fmac_f32_e32 v8, v0, v6
	v_fma_f32 v6, v6, v1, -v7
	v_cvt_f64_f32_e32 v[0:1], v8
	v_cvt_f64_f32_e32 v[6:7], v6
	v_mul_f64 v[0:1], v[0:1], s[0:1]
	v_mul_f64 v[6:7], v[6:7], s[0:1]
	v_cvt_f32_f64_e32 v0, v[0:1]
	v_cvt_f32_f64_e32 v1, v[6:7]
	global_store_dwordx2 v[4:5], v[0:1], off
	global_load_dwordx2 v[0:1], v78, s[12:13] offset:1920
	v_add_co_u32 v4, vcc_lo, v4, s3
	v_add_co_ci_u32_e32 v5, vcc_lo, s2, v5, vcc_lo
	s_waitcnt vmcnt(0)
	v_mul_f32_e32 v6, v3, v1
	v_mul_f32_e32 v1, v2, v1
	v_fmac_f32_e32 v6, v2, v0
	v_fma_f32 v2, v0, v3, -v1
	v_cvt_f64_f32_e32 v[0:1], v6
	v_cvt_f64_f32_e32 v[2:3], v2
	v_mul_f64 v[0:1], v[0:1], s[0:1]
	v_mul_f64 v[2:3], v[2:3], s[0:1]
	v_cvt_f32_f64_e32 v0, v[0:1]
	v_cvt_f32_f64_e32 v1, v[2:3]
	v_add_co_u32 v2, s6, s12, v78
	v_add_co_ci_u32_e64 v3, null, s13, 0, s6
	v_add_co_u32 v6, vcc_lo, 0x800, v2
	v_add_co_ci_u32_e32 v7, vcc_lo, 0, v3, vcc_lo
	global_store_dwordx2 v[4:5], v[0:1], off
	global_load_dwordx2 v[8:9], v[6:7], off offset:32
	ds_read2_b64 v[0:3], v12 offset0:4 offset1:24
	v_add_co_u32 v4, vcc_lo, v4, s3
	v_add_co_ci_u32_e32 v5, vcc_lo, s2, v5, vcc_lo
	s_waitcnt vmcnt(0) lgkmcnt(0)
	v_mul_f32_e32 v13, v1, v9
	v_mul_f32_e32 v9, v0, v9
	v_fmac_f32_e32 v13, v0, v8
	v_fma_f32 v8, v8, v1, -v9
	v_cvt_f64_f32_e32 v[0:1], v13
	v_cvt_f64_f32_e32 v[8:9], v8
	v_mul_f64 v[0:1], v[0:1], s[0:1]
	v_mul_f64 v[8:9], v[8:9], s[0:1]
	v_cvt_f32_f64_e32 v0, v[0:1]
	v_cvt_f32_f64_e32 v1, v[8:9]
	global_store_dwordx2 v[4:5], v[0:1], off
	global_load_dwordx2 v[0:1], v[6:7], off offset:192
	v_add_co_u32 v4, vcc_lo, v4, s3
	v_add_co_ci_u32_e32 v5, vcc_lo, s2, v5, vcc_lo
	s_waitcnt vmcnt(0)
	v_mul_f32_e32 v8, v3, v1
	v_mul_f32_e32 v1, v2, v1
	v_fmac_f32_e32 v8, v2, v0
	v_fma_f32 v2, v0, v3, -v1
	v_cvt_f64_f32_e32 v[0:1], v8
	v_cvt_f64_f32_e32 v[2:3], v2
	v_mul_f64 v[0:1], v[0:1], s[0:1]
	v_mul_f64 v[2:3], v[2:3], s[0:1]
	v_cvt_f32_f64_e32 v0, v[0:1]
	v_cvt_f32_f64_e32 v1, v[2:3]
	global_store_dwordx2 v[4:5], v[0:1], off
	global_load_dwordx2 v[6:7], v[6:7], off offset:352
	ds_read2_b64 v[0:3], v12 offset0:44 offset1:64
	v_add_co_u32 v4, vcc_lo, v4, s3
	v_add_co_ci_u32_e32 v5, vcc_lo, s2, v5, vcc_lo
	s_waitcnt vmcnt(0) lgkmcnt(0)
	v_mul_f32_e32 v8, v1, v7
	v_mul_f32_e32 v7, v0, v7
	v_fmac_f32_e32 v8, v0, v6
	v_fma_f32 v6, v6, v1, -v7
	v_cvt_f64_f32_e32 v[0:1], v8
	v_cvt_f64_f32_e32 v[6:7], v6
	v_mul_f64 v[0:1], v[0:1], s[0:1]
	v_mul_f64 v[6:7], v[6:7], s[0:1]
	v_cvt_f32_f64_e32 v0, v[0:1]
	v_cvt_f32_f64_e32 v1, v[6:7]
	v_lshlrev_b32_e32 v6, 3, v77
	global_store_dwordx2 v[4:5], v[0:1], off
	global_load_dwordx2 v[0:1], v6, s[12:13]
	s_waitcnt vmcnt(0)
	v_mul_f32_e32 v4, v3, v1
	v_mul_f32_e32 v1, v2, v1
	v_fmac_f32_e32 v4, v2, v0
	v_fma_f32 v2, v0, v3, -v1
	v_cvt_f64_f32_e32 v[0:1], v4
	v_cvt_f64_f32_e32 v[2:3], v2
	v_mad_u64_u32 v[4:5], null, s4, v77, 0
	v_mad_u64_u32 v[5:6], null, s5, v77, v[5:6]
	v_mul_f64 v[0:1], v[0:1], s[0:1]
	v_mul_f64 v[2:3], v[2:3], s[0:1]
	v_cvt_f32_f64_e32 v0, v[0:1]
	v_cvt_f32_f64_e32 v1, v[2:3]
	v_lshlrev_b64 v[2:3], 3, v[4:5]
	v_add_co_u32 v2, vcc_lo, v10, v2
	v_add_co_ci_u32_e32 v3, vcc_lo, v11, v3, vcc_lo
	global_store_dwordx2 v[2:3], v[0:1], off
.LBB0_15:
	s_endpgm
	.section	.rodata,"a",@progbits
	.p2align	6, 0x0
	.amdhsa_kernel bluestein_single_fwd_len340_dim1_sp_op_CI_CI
		.amdhsa_group_segment_fixed_size 8160
		.amdhsa_private_segment_fixed_size 0
		.amdhsa_kernarg_size 104
		.amdhsa_user_sgpr_count 6
		.amdhsa_user_sgpr_private_segment_buffer 1
		.amdhsa_user_sgpr_dispatch_ptr 0
		.amdhsa_user_sgpr_queue_ptr 0
		.amdhsa_user_sgpr_kernarg_segment_ptr 1
		.amdhsa_user_sgpr_dispatch_id 0
		.amdhsa_user_sgpr_flat_scratch_init 0
		.amdhsa_user_sgpr_private_segment_size 0
		.amdhsa_wavefront_size32 1
		.amdhsa_uses_dynamic_stack 0
		.amdhsa_system_sgpr_private_segment_wavefront_offset 0
		.amdhsa_system_sgpr_workgroup_id_x 1
		.amdhsa_system_sgpr_workgroup_id_y 0
		.amdhsa_system_sgpr_workgroup_id_z 0
		.amdhsa_system_sgpr_workgroup_info 0
		.amdhsa_system_vgpr_workitem_id 0
		.amdhsa_next_free_vgpr 238
		.amdhsa_next_free_sgpr 16
		.amdhsa_reserve_vcc 1
		.amdhsa_reserve_flat_scratch 0
		.amdhsa_float_round_mode_32 0
		.amdhsa_float_round_mode_16_64 0
		.amdhsa_float_denorm_mode_32 3
		.amdhsa_float_denorm_mode_16_64 3
		.amdhsa_dx10_clamp 1
		.amdhsa_ieee_mode 1
		.amdhsa_fp16_overflow 0
		.amdhsa_workgroup_processor_mode 1
		.amdhsa_memory_ordered 1
		.amdhsa_forward_progress 0
		.amdhsa_shared_vgpr_count 0
		.amdhsa_exception_fp_ieee_invalid_op 0
		.amdhsa_exception_fp_denorm_src 0
		.amdhsa_exception_fp_ieee_div_zero 0
		.amdhsa_exception_fp_ieee_overflow 0
		.amdhsa_exception_fp_ieee_underflow 0
		.amdhsa_exception_fp_ieee_inexact 0
		.amdhsa_exception_int_div_zero 0
	.end_amdhsa_kernel
	.text
.Lfunc_end0:
	.size	bluestein_single_fwd_len340_dim1_sp_op_CI_CI, .Lfunc_end0-bluestein_single_fwd_len340_dim1_sp_op_CI_CI
                                        ; -- End function
	.section	.AMDGPU.csdata,"",@progbits
; Kernel info:
; codeLenInByte = 17904
; NumSgprs: 18
; NumVgprs: 238
; ScratchSize: 0
; MemoryBound: 0
; FloatMode: 240
; IeeeMode: 1
; LDSByteSize: 8160 bytes/workgroup (compile time only)
; SGPRBlocks: 2
; VGPRBlocks: 29
; NumSGPRsForWavesPerEU: 18
; NumVGPRsForWavesPerEU: 238
; Occupancy: 4
; WaveLimiterHint : 1
; COMPUTE_PGM_RSRC2:SCRATCH_EN: 0
; COMPUTE_PGM_RSRC2:USER_SGPR: 6
; COMPUTE_PGM_RSRC2:TRAP_HANDLER: 0
; COMPUTE_PGM_RSRC2:TGID_X_EN: 1
; COMPUTE_PGM_RSRC2:TGID_Y_EN: 0
; COMPUTE_PGM_RSRC2:TGID_Z_EN: 0
; COMPUTE_PGM_RSRC2:TIDIG_COMP_CNT: 0
	.text
	.p2alignl 6, 3214868480
	.fill 48, 4, 3214868480
	.type	__hip_cuid_31586951d5b87008,@object ; @__hip_cuid_31586951d5b87008
	.section	.bss,"aw",@nobits
	.globl	__hip_cuid_31586951d5b87008
__hip_cuid_31586951d5b87008:
	.byte	0                               ; 0x0
	.size	__hip_cuid_31586951d5b87008, 1

	.ident	"AMD clang version 19.0.0git (https://github.com/RadeonOpenCompute/llvm-project roc-6.4.0 25133 c7fe45cf4b819c5991fe208aaa96edf142730f1d)"
	.section	".note.GNU-stack","",@progbits
	.addrsig
	.addrsig_sym __hip_cuid_31586951d5b87008
	.amdgpu_metadata
---
amdhsa.kernels:
  - .args:
      - .actual_access:  read_only
        .address_space:  global
        .offset:         0
        .size:           8
        .value_kind:     global_buffer
      - .actual_access:  read_only
        .address_space:  global
        .offset:         8
        .size:           8
        .value_kind:     global_buffer
      - .actual_access:  read_only
        .address_space:  global
        .offset:         16
        .size:           8
        .value_kind:     global_buffer
      - .actual_access:  read_only
        .address_space:  global
        .offset:         24
        .size:           8
        .value_kind:     global_buffer
      - .actual_access:  read_only
        .address_space:  global
        .offset:         32
        .size:           8
        .value_kind:     global_buffer
      - .offset:         40
        .size:           8
        .value_kind:     by_value
      - .address_space:  global
        .offset:         48
        .size:           8
        .value_kind:     global_buffer
      - .address_space:  global
        .offset:         56
        .size:           8
        .value_kind:     global_buffer
      - .address_space:  global
        .offset:         64
        .size:           8
        .value_kind:     global_buffer
      - .address_space:  global
        .offset:         72
        .size:           8
        .value_kind:     global_buffer
      - .offset:         80
        .size:           4
        .value_kind:     by_value
      - .address_space:  global
        .offset:         88
        .size:           8
        .value_kind:     global_buffer
      - .address_space:  global
        .offset:         96
        .size:           8
        .value_kind:     global_buffer
    .group_segment_fixed_size: 8160
    .kernarg_segment_align: 8
    .kernarg_segment_size: 104
    .language:       OpenCL C
    .language_version:
      - 2
      - 0
    .max_flat_workgroup_size: 102
    .name:           bluestein_single_fwd_len340_dim1_sp_op_CI_CI
    .private_segment_fixed_size: 0
    .sgpr_count:     18
    .sgpr_spill_count: 0
    .symbol:         bluestein_single_fwd_len340_dim1_sp_op_CI_CI.kd
    .uniform_work_group_size: 1
    .uses_dynamic_stack: false
    .vgpr_count:     238
    .vgpr_spill_count: 0
    .wavefront_size: 32
    .workgroup_processor_mode: 1
amdhsa.target:   amdgcn-amd-amdhsa--gfx1030
amdhsa.version:
  - 1
  - 2
...

	.end_amdgpu_metadata
